;; amdgpu-corpus repo=ROCm/rocFFT kind=compiled arch=gfx950 opt=O3
	.text
	.amdgcn_target "amdgcn-amd-amdhsa--gfx950"
	.amdhsa_code_object_version 6
	.protected	bluestein_single_back_len1632_dim1_dp_op_CI_CI ; -- Begin function bluestein_single_back_len1632_dim1_dp_op_CI_CI
	.globl	bluestein_single_back_len1632_dim1_dp_op_CI_CI
	.p2align	8
	.type	bluestein_single_back_len1632_dim1_dp_op_CI_CI,@function
bluestein_single_back_len1632_dim1_dp_op_CI_CI: ; @bluestein_single_back_len1632_dim1_dp_op_CI_CI
; %bb.0:
	s_load_dwordx4 s[8:11], s[0:1], 0x28
	v_mul_u32_u24_e32 v1, 0x283, v0
	v_mov_b32_e32 v245, 0
	v_add_u32_sdwa v246, s2, v1 dst_sel:DWORD dst_unused:UNUSED_PAD src0_sel:DWORD src1_sel:WORD_1
	v_mov_b32_e32 v247, v245
	s_waitcnt lgkmcnt(0)
	v_cmp_gt_u64_e32 vcc, s[8:9], v[246:247]
	s_and_saveexec_b64 s[2:3], vcc
	s_cbranch_execz .LBB0_23
; %bb.1:
	s_load_dwordx2 s[8:9], s[0:1], 0x0
	s_load_dwordx2 s[12:13], s[0:1], 0x38
	s_movk_i32 s2, 0x66
	v_mul_lo_u16_sdwa v1, v1, s2 dst_sel:DWORD dst_unused:UNUSED_PAD src0_sel:WORD_1 src1_sel:DWORD
	v_sub_u16_e32 v244, v0, v1
	s_movk_i32 s2, 0x60
	v_cmp_gt_u16_e32 vcc, s2, v244
	v_lshlrev_b32_e32 v252, 4, v244
	s_and_saveexec_b64 s[14:15], vcc
	s_cbranch_execz .LBB0_3
; %bb.2:
	s_load_dwordx2 s[2:3], s[0:1], 0x18
	v_mov_b32_e32 v253, 0
	s_waitcnt lgkmcnt(0)
	v_lshl_add_u64 v[126:127], s[8:9], 0, v[252:253]
	v_mov_b32_e32 v0, s10
	v_mov_b32_e32 v1, s11
	s_load_dwordx4 s[4:7], s[2:3], 0x0
	v_or_b32_e32 v139, 0x600, v244
	v_or_b32_e32 v21, 0x180, v244
	;; [unrolled: 1-line block ×3, first 2 shown]
	v_lshlrev_b32_e32 v51, 4, v139
	s_waitcnt lgkmcnt(0)
	v_mad_u64_u32 v[2:3], s[2:3], s6, v246, 0
	v_mad_u64_u32 v[4:5], s[2:3], s4, v244, 0
	v_mov_b32_e32 v6, v3
	v_mov_b32_e32 v8, v5
	v_mad_u64_u32 v[6:7], s[2:3], s7, v246, v[6:7]
	v_mov_b32_e32 v3, v6
	v_mad_u64_u32 v[6:7], s[2:3], s5, v244, v[8:9]
	s_movk_i32 s2, 0x1000
	s_nop 0
	v_add_co_u32_e64 v46, s[2:3], s2, v126
	s_movk_i32 s6, 0x2000
	s_nop 0
	v_addc_co_u32_e64 v47, s[2:3], 0, v127, s[2:3]
	v_add_co_u32_e64 v48, s[2:3], s6, v126
	v_mov_b32_e32 v5, v6
	v_lshl_add_u64 v[16:17], v[2:3], 4, v[0:1]
	v_addc_co_u32_e64 v49, s[2:3], 0, v127, s[2:3]
	v_lshl_add_u64 v[18:19], v[4:5], 4, v[16:17]
	global_load_dwordx4 v[0:3], v252, s[8:9]
	global_load_dwordx4 v[4:7], v[18:19], off
	global_load_dwordx4 v[8:11], v252, s[8:9] offset:1536
	global_load_dwordx4 v[12:15], v252, s[8:9] offset:3072
	v_lshlrev_b32_e32 v50, 4, v21
	global_load_dwordx4 v[22:25], v51, s[8:9]
	global_load_dwordx4 v[26:29], v[46:47], off offset:512
	global_load_dwordx4 v[30:33], v[46:47], off offset:3584
	global_load_dwordx4 v[34:37], v50, s[8:9]
	global_load_dwordx4 v[38:41], v[48:49], off offset:1024
	global_load_dwordx4 v[42:45], v[48:49], off offset:2560
	v_mad_u64_u32 v[46:47], s[2:3], s4, v21, 0
	v_mad_u64_u32 v[48:49], s[2:3], s4, v53, 0
	v_mov_b32_e32 v20, 0x600
	v_mov_b32_e32 v50, v47
	;; [unrolled: 1-line block ×3, first 2 shown]
	v_lshlrev_b32_e32 v92, 4, v53
	s_mul_i32 s6, s5, 0x600
	v_mad_u64_u32 v[50:51], s[2:3], s5, v21, v[50:51]
	v_mad_u64_u32 v[52:53], s[2:3], s5, v53, v[52:53]
	;; [unrolled: 1-line block ×3, first 2 shown]
	v_mov_b32_e32 v47, v50
	v_mov_b32_e32 v49, v52
	v_add_u32_e32 v19, s6, v19
	v_lshl_add_u64 v[54:55], v[46:47], 4, v[16:17]
	v_lshl_add_u64 v[56:57], v[48:49], 4, v[16:17]
	v_mad_u64_u32 v[62:63], s[2:3], s4, v20, v[18:19]
	global_load_dwordx4 v[46:49], v[54:55], off
	global_load_dwordx4 v[50:53], v[56:57], off
	v_add_u32_e32 v63, s6, v63
	global_load_dwordx4 v[54:57], v[18:19], off
	global_load_dwordx4 v[58:61], v[62:63], off
	v_mad_u64_u32 v[18:19], s[2:3], s4, v20, v[62:63]
	v_mov_b32_e32 v116, 0xc00
	v_add_u32_e32 v19, s6, v19
	s_mul_i32 s10, s5, 0xc00
	v_mad_u64_u32 v[70:71], s[2:3], s4, v116, v[18:19]
	v_add_u32_e32 v71, s10, v71
	global_load_dwordx4 v[62:65], v[18:19], off
	global_load_dwordx4 v[66:69], v[70:71], off
	v_mad_u64_u32 v[18:19], s[2:3], s4, v20, v[70:71]
	v_add_u32_e32 v19, s6, v19
	global_load_dwordx4 v[70:73], v[18:19], off
	v_mad_u64_u32 v[18:19], s[2:3], s4, v20, v[18:19]
	v_add_u32_e32 v19, s6, v19
	s_movk_i32 s7, 0x3000
	v_mad_u64_u32 v[90:91], s[2:3], s4, v116, v[18:19]
	v_add_u32_e32 v91, s10, v91
	v_add_co_u32_e64 v106, s[2:3], s7, v126
	global_load_dwordx4 v[74:77], v[18:19], off
	s_nop 0
	v_addc_co_u32_e64 v107, s[2:3], 0, v127, s[2:3]
	v_mad_u64_u32 v[94:95], s[2:3], s4, v20, v[90:91]
	v_add_u32_e32 v95, s6, v95
	v_mad_u64_u32 v[114:115], s[2:3], s4, v20, v[94:95]
	global_load_dwordx4 v[78:81], v[90:91], off
	global_load_dwordx4 v[82:85], v92, s[8:9]
	global_load_dwordx4 v[86:89], v[106:107], off offset:1536
	s_movk_i32 s2, 0x4000
	v_add_u32_e32 v115, s6, v115
	v_add_co_u32_e64 v118, s[2:3], s2, v126
	v_or_b32_e32 v21, 0x480, v244
	global_load_dwordx4 v[90:93], v[94:95], off
	v_addc_co_u32_e64 v119, s[2:3], 0, v127, s[2:3]
	global_load_dwordx4 v[94:97], v[114:115], off
	global_load_dwordx4 v[98:101], v[106:107], off offset:3072
	global_load_dwordx4 v[102:105], v[118:119], off offset:512
	v_mad_u64_u32 v[106:107], s[2:3], s4, v21, 0
	v_mov_b32_e32 v108, v107
	v_mad_u64_u32 v[122:123], s[2:3], s4, v116, v[114:115]
	v_mad_u64_u32 v[108:109], s[2:3], s5, v21, v[108:109]
	v_add_u32_e32 v123, s10, v123
	v_mov_b32_e32 v107, v108
	v_mad_u64_u32 v[130:131], s[2:3], s4, v20, v[122:123]
	v_lshl_add_u64 v[106:107], v[106:107], 4, v[16:17]
	v_lshlrev_b32_e32 v21, 4, v21
	s_movk_i32 s2, 0x5000
	global_load_dwordx4 v[106:109], v[106:107], off
	v_add_u32_e32 v131, s6, v131
	global_load_dwordx4 v[110:113], v21, s[8:9]
	v_add_co_u32_e64 v134, s[2:3], s2, v126
	global_load_dwordx4 v[114:117], v[122:123], off
	s_nop 0
	global_load_dwordx4 v[118:121], v[118:119], off offset:3584
	v_addc_co_u32_e64 v135, s[2:3], 0, v127, s[2:3]
	v_mad_u64_u32 v[20:21], s[2:3], s4, v20, v[130:131]
	v_add_u32_e32 v21, s6, v21
	global_load_dwordx4 v[122:125], v[130:131], off
	global_load_dwordx4 v[126:129], v[134:135], off offset:1024
	s_nop 0
	global_load_dwordx4 v[130:133], v[20:21], off
	s_nop 0
	global_load_dwordx4 v[134:137], v[134:135], off offset:2560
	v_mad_u64_u32 v[20:21], s[2:3], s4, v139, 0
	v_mov_b32_e32 v138, v21
	v_mad_u64_u32 v[138:139], s[2:3], s5, v139, v[138:139]
	v_mov_b32_e32 v21, v138
	v_lshl_add_u64 v[16:17], v[20:21], 4, v[16:17]
	global_load_dwordx4 v[138:141], v[16:17], off
	s_waitcnt vmcnt(32)
	v_mul_f64 v[18:19], v[6:7], v[2:3]
	v_mul_f64 v[2:3], v[4:5], v[2:3]
	v_fmac_f64_e32 v[18:19], v[4:5], v[0:1]
	v_fma_f64 v[20:21], v[6:7], v[0:1], -v[2:3]
	s_waitcnt vmcnt(21)
	v_mul_f64 v[0:1], v[56:57], v[10:11]
	v_mul_f64 v[2:3], v[54:55], v[10:11]
	v_fmac_f64_e32 v[0:1], v[54:55], v[8:9]
	v_fma_f64 v[2:3], v[56:57], v[8:9], -v[2:3]
	ds_write_b128 v252, v[0:3] offset:1536
	s_waitcnt vmcnt(20)
	v_mul_f64 v[0:1], v[60:61], v[14:15]
	v_mul_f64 v[2:3], v[58:59], v[14:15]
	v_fmac_f64_e32 v[0:1], v[58:59], v[12:13]
	v_fma_f64 v[2:3], v[60:61], v[12:13], -v[2:3]
	ds_write_b128 v252, v[0:3] offset:3072
	;; [unrolled: 6-line block ×3, first 2 shown]
	v_mul_f64 v[0:1], v[48:49], v[36:37]
	v_mul_f64 v[2:3], v[46:47], v[36:37]
	v_fmac_f64_e32 v[0:1], v[46:47], v[34:35]
	v_fma_f64 v[2:3], v[48:49], v[34:35], -v[2:3]
	ds_write_b128 v252, v[0:3] offset:6144
	s_waitcnt vmcnt(18)
	v_mul_f64 v[0:1], v[68:69], v[32:33]
	v_mul_f64 v[2:3], v[66:67], v[32:33]
	v_fmac_f64_e32 v[0:1], v[66:67], v[30:31]
	v_fma_f64 v[2:3], v[68:69], v[30:31], -v[2:3]
	ds_write_b128 v252, v[0:3] offset:7680
	s_waitcnt vmcnt(17)
	;; [unrolled: 6-line block ×7, first 2 shown]
	v_mul_f64 v[0:1], v[96:97], v[104:105]
	v_mul_f64 v[2:3], v[94:95], v[104:105]
	v_fmac_f64_e32 v[0:1], v[94:95], v[102:103]
	v_fma_f64 v[2:3], v[96:97], v[102:103], -v[2:3]
	ds_write_b128 v252, v[0:3] offset:16896
	ds_write_b128 v252, v[18:21]
	s_waitcnt vmcnt(7)
	v_mul_f64 v[0:1], v[108:109], v[112:113]
	v_mul_f64 v[2:3], v[106:107], v[112:113]
	v_fmac_f64_e32 v[0:1], v[106:107], v[110:111]
	v_fma_f64 v[2:3], v[108:109], v[110:111], -v[2:3]
	ds_write_b128 v252, v[0:3] offset:18432
	s_waitcnt vmcnt(5)
	v_mul_f64 v[0:1], v[116:117], v[120:121]
	v_mul_f64 v[2:3], v[114:115], v[120:121]
	v_fmac_f64_e32 v[0:1], v[114:115], v[118:119]
	v_fma_f64 v[2:3], v[116:117], v[118:119], -v[2:3]
	ds_write_b128 v252, v[0:3] offset:19968
	;; [unrolled: 6-line block ×5, first 2 shown]
.LBB0_3:
	s_or_b64 exec, exec, s[14:15]
	s_load_dwordx2 s[2:3], s[0:1], 0x20
	s_load_dwordx2 s[10:11], s[0:1], 0x8
	s_waitcnt lgkmcnt(0)
	s_barrier
	s_waitcnt lgkmcnt(0)
                                        ; implicit-def: $vgpr0_vgpr1
                                        ; implicit-def: $vgpr4_vgpr5
                                        ; implicit-def: $vgpr12_vgpr13
                                        ; implicit-def: $vgpr24_vgpr25
                                        ; implicit-def: $vgpr32_vgpr33
                                        ; implicit-def: $vgpr36_vgpr37
                                        ; implicit-def: $vgpr52_vgpr53
                                        ; implicit-def: $vgpr60_vgpr61
                                        ; implicit-def: $vgpr64_vgpr65
                                        ; implicit-def: $vgpr56_vgpr57
                                        ; implicit-def: $vgpr48_vgpr49
                                        ; implicit-def: $vgpr44_vgpr45
                                        ; implicit-def: $vgpr40_vgpr41
                                        ; implicit-def: $vgpr28_vgpr29
                                        ; implicit-def: $vgpr20_vgpr21
                                        ; implicit-def: $vgpr16_vgpr17
                                        ; implicit-def: $vgpr8_vgpr9
	s_and_saveexec_b64 s[0:1], vcc
	s_cbranch_execz .LBB0_5
; %bb.4:
	ds_read_b128 v[0:3], v252
	ds_read_b128 v[8:11], v252 offset:1536
	ds_read_b128 v[4:7], v252 offset:3072
	;; [unrolled: 1-line block ×16, first 2 shown]
.LBB0_5:
	s_or_b64 exec, exec, s[0:1]
	s_mov_b32 s24, 0x5d8e7cdc
	s_waitcnt lgkmcnt(0)
	v_add_f64 v[140:141], v[10:11], -v[66:67]
	s_mov_b32 s4, 0x370991
	s_mov_b32 s25, 0xbfd71e95
	;; [unrolled: 1-line block ×3, first 2 shown]
	v_add_f64 v[122:123], v[64:65], v[8:9]
	v_add_f64 v[126:127], v[8:9], -v[64:65]
	s_mov_b32 s5, 0x3fedd6d0
	v_mul_f64 v[116:117], v[140:141], s[24:25]
	v_add_f64 v[152:153], v[6:7], -v[62:63]
	s_mov_b32 s6, 0x75d4884
	s_mov_b32 s15, 0xbfe58eea
	v_add_f64 v[160:161], v[66:67], v[10:11]
	v_mul_f64 v[118:119], v[126:127], s[24:25]
	v_fma_f64 v[68:69], s[4:5], v[122:123], v[116:117]
	v_add_f64 v[130:131], v[4:5], v[60:61]
	v_add_f64 v[136:137], v[4:5], -v[60:61]
	s_mov_b32 s7, 0x3fe7a5f6
	v_mul_f64 v[120:121], v[152:153], s[14:15]
	s_mov_b32 s34, 0x7c9e640b
	v_add_f64 v[68:69], v[0:1], v[68:69]
	v_fma_f64 v[70:71], v[160:161], s[4:5], -v[118:119]
	v_add_f64 v[172:173], v[6:7], v[62:63]
	v_mul_f64 v[124:125], v[136:137], s[14:15]
	v_fma_f64 v[72:73], s[6:7], v[130:131], v[120:121]
	v_add_f64 v[164:165], v[18:19], -v[58:59]
	s_mov_b32 s16, 0x2b2883cd
	s_mov_b32 s35, 0xbfeca52d
	v_add_f64 v[70:71], v[2:3], v[70:71]
	v_add_f64 v[68:69], v[72:73], v[68:69]
	v_fma_f64 v[72:73], v[172:173], s[6:7], -v[124:125]
	v_add_f64 v[138:139], v[56:57], v[16:17]
	v_add_f64 v[148:149], v[16:17], -v[56:57]
	s_mov_b32 s17, 0x3fdc86fa
	v_mul_f64 v[128:129], v[164:165], s[34:35]
	s_mov_b32 s20, 0xeb564b22
	v_add_f64 v[70:71], v[72:73], v[70:71]
	v_add_f64 v[184:185], v[58:59], v[18:19]
	v_mul_f64 v[132:133], v[148:149], s[34:35]
	v_fma_f64 v[72:73], s[16:17], v[138:139], v[128:129]
	v_add_f64 v[178:179], v[22:23], -v[54:55]
	s_mov_b32 s18, 0x3259b75e
	s_mov_b32 s21, 0xbfefdd0d
	v_add_f64 v[68:69], v[72:73], v[68:69]
	v_fma_f64 v[72:73], v[184:185], s[16:17], -v[132:133]
	v_add_f64 v[146:147], v[52:53], v[20:21]
	v_add_f64 v[158:159], v[20:21], -v[52:53]
	s_mov_b32 s19, 0x3fb79ee6
	v_mul_f64 v[134:135], v[178:179], s[20:21]
	s_mov_b32 s38, 0x923c349f
	v_add_f64 v[70:71], v[72:73], v[70:71]
	v_add_f64 v[198:199], v[54:55], v[22:23]
	v_mul_f64 v[142:143], v[158:159], s[20:21]
	v_fma_f64 v[72:73], s[18:19], v[146:147], v[134:135]
	v_add_f64 v[192:193], v[14:15], -v[50:51]
	s_mov_b32 s22, 0xc61f0d01
	s_mov_b32 s39, 0xbfeec746
	;; [unrolled: 14-line block ×5, first 2 shown]
	v_add_f64 v[68:69], v[72:73], v[68:69]
	v_fma_f64 v[72:73], v[200:201], s[30:31], -v[174:175]
	v_add_f64 v[190:191], v[32:33], v[40:41]
	s_mov_b32 s37, 0xbfef7484
	v_mul_f64 v[176:177], v[212:213], s[40:41]
	v_add_f64 v[210:211], v[32:33], -v[40:41]
	v_add_f64 v[70:71], v[72:73], v[70:71]
	v_fma_f64 v[72:73], s[36:37], v[190:191], v[176:177]
	v_add_f64 v[206:207], v[34:35], v[42:43]
	v_mul_f64 v[194:195], v[210:211], s[40:41]
	v_add_f64 v[112:113], v[72:73], v[68:69]
	v_fma_f64 v[68:69], v[206:207], s[36:37], -v[194:195]
	v_add_f64 v[114:115], v[68:69], v[70:71]
	s_barrier
	s_and_saveexec_b64 s[0:1], vcc
	s_cbranch_execz .LBB0_7
; %bb.6:
	v_mul_f64 v[96:97], v[160:161], s[36:37]
	s_mov_b32 s55, 0x3fc7851a
	s_mov_b32 s54, s40
	v_mul_f64 v[92:93], v[172:173], s[4:5]
	v_fma_f64 v[98:99], s[54:55], v[126:127], v[96:97]
	s_mov_b32 s53, 0x3fd71e95
	s_mov_b32 s52, s24
	v_mul_f64 v[216:217], v[140:141], s[40:41]
	v_mul_f64 v[88:89], v[184:185], s[30:31]
	s_mov_b32 s47, 0x3fe0d888
	s_mov_b32 s46, s42
	v_fma_f64 v[94:95], s[24:25], v[136:137], v[92:93]
	v_add_f64 v[98:99], v[2:3], v[98:99]
	v_mul_f64 v[110:111], v[152:153], s[52:53]
	v_fma_f64 v[218:219], s[36:37], v[122:123], v[216:217]
	v_mul_f64 v[84:85], v[198:199], s[6:7]
	v_fma_f64 v[90:91], s[46:47], v[148:149], v[88:89]
	v_add_f64 v[94:95], v[94:95], v[98:99]
	s_mov_b32 s59, 0x3fe58eea
	s_mov_b32 s58, s14
	v_mul_f64 v[106:107], v[164:165], s[42:43]
	v_fma_f64 v[214:215], s[4:5], v[130:131], v[110:111]
	v_add_f64 v[218:219], v[0:1], v[218:219]
	v_mul_f64 v[80:81], v[204:205], s[26:27]
	s_mov_b32 s51, 0x3fe9895b
	s_mov_b32 s50, s28
	v_fma_f64 v[86:87], s[14:15], v[158:159], v[84:85]
	v_add_f64 v[90:91], v[90:91], v[94:95]
	v_mul_f64 v[102:103], v[178:179], s[58:59]
	v_fma_f64 v[108:109], s[30:31], v[138:139], v[106:107]
	v_add_f64 v[214:215], v[214:215], v[218:219]
	v_mul_f64 v[76:77], v[188:189], s[16:17]
	v_fma_f64 v[82:83], s[50:51], v[170:171], v[80:81]
	v_add_f64 v[86:87], v[86:87], v[90:91]
	s_mov_b32 s49, 0x3feca52d
	s_mov_b32 s48, s34
	v_mul_f64 v[98:99], v[192:193], s[28:29]
	v_fma_f64 v[104:105], s[6:7], v[146:147], v[102:103]
	v_add_f64 v[108:109], v[108:109], v[214:215]
	v_mul_f64 v[74:75], v[200:201], s[22:23]
	s_mov_b32 s45, 0x3feec746
	s_mov_b32 s44, s38
	v_fma_f64 v[78:79], s[34:35], v[182:183], v[76:77]
	v_add_f64 v[82:83], v[82:83], v[86:87]
	v_mul_f64 v[90:91], v[202:203], s[48:49]
	v_fma_f64 v[100:101], s[26:27], v[156:157], v[98:99]
	v_add_f64 v[104:105], v[104:105], v[108:109]
	v_mul_f64 v[72:73], v[206:207], s[18:19]
	v_fma_f64 v[70:71], s[44:45], v[196:197], v[74:75]
	v_add_f64 v[78:79], v[78:79], v[82:83]
	s_mov_b32 s57, 0x3fefdd0d
	s_mov_b32 s56, s20
	v_mul_f64 v[82:83], v[208:209], s[38:39]
	v_fma_f64 v[94:95], s[16:17], v[168:169], v[90:91]
	v_add_f64 v[100:101], v[100:101], v[104:105]
	v_fma_f64 v[68:69], s[20:21], v[210:211], v[72:73]
	v_add_f64 v[70:71], v[70:71], v[78:79]
	v_mul_f64 v[78:79], v[212:213], s[56:57]
	v_fma_f64 v[86:87], s[22:23], v[180:181], v[82:83]
	v_add_f64 v[94:95], v[94:95], v[100:101]
	v_add_f64 v[70:71], v[68:69], v[70:71]
	v_fma_f64 v[68:69], s[18:19], v[190:191], v[78:79]
	v_add_f64 v[86:87], v[86:87], v[94:95]
	v_fmac_f64_e32 v[96:97], s[40:41], v[126:127]
	v_add_f64 v[68:69], v[68:69], v[86:87]
	v_fmac_f64_e32 v[92:93], s[52:53], v[136:137]
	;; [unrolled: 2-line block ×6, first 2 shown]
	v_add_f64 v[80:81], v[80:81], v[84:85]
	v_fma_f64 v[88:89], v[122:123], s[36:37], -v[216:217]
	v_mul_f64 v[104:105], v[160:161], s[30:31]
	v_fmac_f64_e32 v[74:75], s[38:39], v[196:197]
	v_add_f64 v[76:77], v[76:77], v[80:81]
	v_fma_f64 v[84:85], v[138:139], s[30:31], -v[106:107]
	v_fma_f64 v[86:87], v[130:131], s[4:5], -v[110:111]
	v_add_f64 v[88:89], v[0:1], v[88:89]
	v_mul_f64 v[100:101], v[172:173], s[16:17]
	v_fma_f64 v[106:107], s[46:47], v[126:127], v[104:105]
	v_mul_f64 v[224:225], v[140:141], s[42:43]
	v_add_f64 v[74:75], v[74:75], v[76:77]
	v_fma_f64 v[76:77], v[180:181], s[22:23], -v[82:83]
	v_fma_f64 v[82:83], v[146:147], s[6:7], -v[102:103]
	v_add_f64 v[86:87], v[86:87], v[88:89]
	v_mul_f64 v[96:97], v[184:185], s[18:19]
	v_fma_f64 v[102:103], s[34:35], v[136:137], v[100:101]
	v_add_f64 v[106:107], v[2:3], v[106:107]
	v_mul_f64 v[220:221], v[152:153], s[48:49]
	v_fma_f64 v[226:227], s[30:31], v[122:123], v[224:225]
	v_fma_f64 v[80:81], v[156:157], s[26:27], -v[98:99]
	v_add_f64 v[84:85], v[84:85], v[86:87]
	v_mul_f64 v[92:93], v[198:199], s[26:27]
	v_fma_f64 v[98:99], s[56:57], v[148:149], v[96:97]
	v_add_f64 v[102:103], v[102:103], v[106:107]
	v_mul_f64 v[216:217], v[164:165], s[20:21]
	v_fma_f64 v[222:223], s[16:17], v[130:131], v[220:221]
	v_add_f64 v[226:227], v[0:1], v[226:227]
	v_fmac_f64_e32 v[72:73], s[56:57], v[210:211]
	v_add_f64 v[82:83], v[82:83], v[84:85]
	v_mul_f64 v[88:89], v[204:205], s[4:5]
	v_fma_f64 v[94:95], s[28:29], v[158:159], v[92:93]
	v_add_f64 v[98:99], v[98:99], v[102:103]
	v_mul_f64 v[110:111], v[178:179], s[50:51]
	v_fma_f64 v[218:219], s[18:19], v[138:139], v[216:217]
	v_add_f64 v[222:223], v[222:223], v[226:227]
	v_add_f64 v[74:75], v[72:73], v[74:75]
	v_fma_f64 v[72:73], v[190:191], s[18:19], -v[78:79]
	v_fma_f64 v[78:79], v[168:169], s[16:17], -v[90:91]
	v_add_f64 v[80:81], v[80:81], v[82:83]
	v_mul_f64 v[84:85], v[188:189], s[36:37]
	v_fma_f64 v[90:91], s[52:53], v[170:171], v[88:89]
	v_add_f64 v[94:95], v[94:95], v[98:99]
	v_mul_f64 v[106:107], v[192:193], s[24:25]
	v_fma_f64 v[214:215], s[26:27], v[146:147], v[110:111]
	v_add_f64 v[218:219], v[218:219], v[222:223]
	v_add_f64 v[78:79], v[78:79], v[80:81]
	v_mul_f64 v[82:83], v[200:201], s[6:7]
	v_fma_f64 v[86:87], s[54:55], v[182:183], v[84:85]
	v_add_f64 v[90:91], v[90:91], v[94:95]
	v_mul_f64 v[98:99], v[202:203], s[40:41]
	v_fma_f64 v[108:109], s[4:5], v[156:157], v[106:107]
	v_add_f64 v[214:215], v[214:215], v[218:219]
	;; [unrolled: 7-line block ×3, first 2 shown]
	v_add_f64 v[72:73], v[72:73], v[76:77]
	v_fma_f64 v[76:77], s[44:45], v[210:211], v[80:81]
	v_add_f64 v[78:79], v[78:79], v[86:87]
	v_mul_f64 v[86:87], v[212:213], s[38:39]
	v_fma_f64 v[94:95], s[6:7], v[180:181], v[90:91]
	v_add_f64 v[102:103], v[102:103], v[108:109]
	v_add_f64 v[78:79], v[76:77], v[78:79]
	v_fma_f64 v[76:77], s[22:23], v[190:191], v[86:87]
	v_add_f64 v[94:95], v[94:95], v[102:103]
	v_fmac_f64_e32 v[104:105], s[42:43], v[126:127]
	v_add_f64 v[76:77], v[76:77], v[94:95]
	v_fmac_f64_e32 v[100:101], s[48:49], v[136:137]
	;; [unrolled: 2-line block ×6, first 2 shown]
	v_add_f64 v[88:89], v[88:89], v[92:93]
	v_fma_f64 v[96:97], v[122:123], s[30:31], -v[224:225]
	v_mul_f64 v[214:215], v[160:161], s[26:27]
	v_fmac_f64_e32 v[82:83], s[58:59], v[196:197]
	v_add_f64 v[84:85], v[84:85], v[88:89]
	v_fma_f64 v[92:93], v[138:139], s[18:19], -v[216:217]
	v_fma_f64 v[94:95], v[130:131], s[16:17], -v[220:221]
	v_add_f64 v[96:97], v[0:1], v[96:97]
	v_mul_f64 v[108:109], v[172:173], s[22:23]
	v_fma_f64 v[216:217], s[50:51], v[126:127], v[214:215]
	v_mul_f64 v[232:233], v[140:141], s[28:29]
	v_add_f64 v[82:83], v[82:83], v[84:85]
	v_fma_f64 v[84:85], v[180:181], s[6:7], -v[90:91]
	v_fma_f64 v[90:91], v[146:147], s[26:27], -v[110:111]
	v_add_f64 v[94:95], v[94:95], v[96:97]
	v_mul_f64 v[104:105], v[184:185], s[4:5]
	v_fma_f64 v[110:111], s[38:39], v[136:137], v[108:109]
	v_add_f64 v[216:217], v[2:3], v[216:217]
	v_mul_f64 v[228:229], v[152:153], s[44:45]
	v_fma_f64 v[234:235], s[26:27], v[122:123], v[232:233]
	v_fma_f64 v[88:89], v[156:157], s[4:5], -v[106:107]
	v_add_f64 v[92:93], v[92:93], v[94:95]
	v_mul_f64 v[100:101], v[198:199], s[30:31]
	v_fma_f64 v[106:107], s[52:53], v[148:149], v[104:105]
	v_add_f64 v[110:111], v[110:111], v[216:217]
	v_mul_f64 v[224:225], v[164:165], s[24:25]
	v_fma_f64 v[230:231], s[22:23], v[130:131], v[228:229]
	v_add_f64 v[234:235], v[0:1], v[234:235]
	v_fmac_f64_e32 v[80:81], s[38:39], v[210:211]
	v_add_f64 v[90:91], v[90:91], v[92:93]
	v_mul_f64 v[96:97], v[204:205], s[18:19]
	v_fma_f64 v[102:103], s[46:47], v[158:159], v[100:101]
	v_add_f64 v[106:107], v[106:107], v[110:111]
	v_mul_f64 v[220:221], v[178:179], s[42:43]
	v_fma_f64 v[226:227], s[4:5], v[138:139], v[224:225]
	v_add_f64 v[230:231], v[230:231], v[234:235]
	v_add_f64 v[82:83], v[80:81], v[82:83]
	v_fma_f64 v[80:81], v[190:191], s[22:23], -v[86:87]
	v_fma_f64 v[86:87], v[168:169], s[36:37], -v[98:99]
	v_add_f64 v[88:89], v[88:89], v[90:91]
	v_mul_f64 v[92:93], v[188:189], s[6:7]
	v_fma_f64 v[98:99], s[20:21], v[170:171], v[96:97]
	v_add_f64 v[102:103], v[102:103], v[106:107]
	v_mul_f64 v[216:217], v[192:193], s[56:57]
	v_fma_f64 v[222:223], s[30:31], v[146:147], v[220:221]
	v_add_f64 v[226:227], v[226:227], v[230:231]
	v_add_f64 v[86:87], v[86:87], v[88:89]
	v_mul_f64 v[90:91], v[200:201], s[36:37]
	v_fma_f64 v[94:95], s[58:59], v[182:183], v[92:93]
	v_add_f64 v[98:99], v[98:99], v[102:103]
	v_mul_f64 v[106:107], v[202:203], s[14:15]
	v_fma_f64 v[218:219], s[18:19], v[156:157], v[216:217]
	v_add_f64 v[222:223], v[222:223], v[226:227]
	;; [unrolled: 7-line block ×3, first 2 shown]
	v_add_f64 v[80:81], v[80:81], v[84:85]
	v_fma_f64 v[84:85], s[34:35], v[210:211], v[88:89]
	v_add_f64 v[86:87], v[86:87], v[94:95]
	v_mul_f64 v[94:95], v[212:213], s[48:49]
	v_fma_f64 v[102:103], s[36:37], v[180:181], v[98:99]
	v_add_f64 v[110:111], v[110:111], v[218:219]
	v_add_f64 v[86:87], v[84:85], v[86:87]
	v_fma_f64 v[84:85], s[16:17], v[190:191], v[94:95]
	v_add_f64 v[102:103], v[102:103], v[110:111]
	v_fmac_f64_e32 v[214:215], s[28:29], v[126:127]
	v_add_f64 v[84:85], v[84:85], v[102:103]
	v_fmac_f64_e32 v[108:109], s[44:45], v[136:137]
	;; [unrolled: 2-line block ×6, first 2 shown]
	v_add_f64 v[96:97], v[96:97], v[100:101]
	v_fma_f64 v[104:105], v[122:123], s[26:27], -v[232:233]
	v_mul_f64 v[222:223], v[160:161], s[22:23]
	v_fmac_f64_e32 v[90:91], s[40:41], v[196:197]
	v_add_f64 v[92:93], v[92:93], v[96:97]
	v_fma_f64 v[100:101], v[138:139], s[4:5], -v[224:225]
	v_fma_f64 v[102:103], v[130:131], s[22:23], -v[228:229]
	v_add_f64 v[104:105], v[0:1], v[104:105]
	v_mul_f64 v[218:219], v[172:173], s[30:31]
	v_fma_f64 v[224:225], s[44:45], v[126:127], v[222:223]
	v_mul_f64 v[240:241], v[140:141], s[38:39]
	v_add_f64 v[90:91], v[90:91], v[92:93]
	v_fma_f64 v[92:93], v[180:181], s[36:37], -v[98:99]
	v_fma_f64 v[98:99], v[146:147], s[30:31], -v[220:221]
	v_add_f64 v[102:103], v[102:103], v[104:105]
	v_mul_f64 v[214:215], v[184:185], s[6:7]
	v_fma_f64 v[220:221], s[42:43], v[136:137], v[218:219]
	v_add_f64 v[224:225], v[2:3], v[224:225]
	v_mul_f64 v[236:237], v[152:153], s[46:47]
	v_fma_f64 v[242:243], s[22:23], v[122:123], v[240:241]
	v_fma_f64 v[96:97], v[156:157], s[18:19], -v[216:217]
	v_add_f64 v[100:101], v[100:101], v[102:103]
	v_mul_f64 v[108:109], v[198:199], s[16:17]
	v_fma_f64 v[216:217], s[14:15], v[148:149], v[214:215]
	v_add_f64 v[220:221], v[220:221], v[224:225]
	v_mul_f64 v[232:233], v[164:165], s[58:59]
	v_fma_f64 v[238:239], s[30:31], v[130:131], v[236:237]
	v_add_f64 v[242:243], v[0:1], v[242:243]
	v_fmac_f64_e32 v[88:89], s[48:49], v[210:211]
	v_add_f64 v[98:99], v[98:99], v[100:101]
	v_mul_f64 v[104:105], v[204:205], s[36:37]
	v_fma_f64 v[110:111], s[48:49], v[158:159], v[108:109]
	v_add_f64 v[216:217], v[216:217], v[220:221]
	v_mul_f64 v[228:229], v[178:179], s[34:35]
	v_fma_f64 v[234:235], s[6:7], v[138:139], v[232:233]
	v_add_f64 v[238:239], v[238:239], v[242:243]
	v_add_f64 v[90:91], v[88:89], v[90:91]
	v_fma_f64 v[88:89], v[190:191], s[16:17], -v[94:95]
	v_fma_f64 v[94:95], v[168:169], s[6:7], -v[106:107]
	v_add_f64 v[96:97], v[96:97], v[98:99]
	v_mul_f64 v[100:101], v[188:189], s[18:19]
	v_fma_f64 v[106:107], s[54:55], v[170:171], v[104:105]
	v_add_f64 v[110:111], v[110:111], v[216:217]
	v_mul_f64 v[224:225], v[192:193], s[40:41]
	v_fma_f64 v[230:231], s[16:17], v[146:147], v[228:229]
	v_add_f64 v[234:235], v[234:235], v[238:239]
	v_add_f64 v[94:95], v[94:95], v[96:97]
	v_mul_f64 v[98:99], v[200:201], s[4:5]
	v_fma_f64 v[102:103], s[20:21], v[182:183], v[100:101]
	v_add_f64 v[106:107], v[106:107], v[110:111]
	v_mul_f64 v[216:217], v[202:203], s[56:57]
	v_fma_f64 v[226:227], s[36:37], v[156:157], v[224:225]
	v_add_f64 v[230:231], v[230:231], v[234:235]
	;; [unrolled: 7-line block ×3, first 2 shown]
	v_add_f64 v[88:89], v[88:89], v[92:93]
	v_fma_f64 v[92:93], s[50:51], v[210:211], v[96:97]
	v_add_f64 v[94:95], v[94:95], v[102:103]
	v_mul_f64 v[102:103], v[212:213], s[28:29]
	v_fma_f64 v[110:111], s[4:5], v[180:181], v[106:107]
	v_add_f64 v[220:221], v[220:221], v[226:227]
	v_add_f64 v[94:95], v[92:93], v[94:95]
	v_fma_f64 v[92:93], s[26:27], v[190:191], v[102:103]
	v_add_f64 v[110:111], v[110:111], v[220:221]
	v_fmac_f64_e32 v[222:223], s[38:39], v[126:127]
	v_add_f64 v[92:93], v[92:93], v[110:111]
	v_fmac_f64_e32 v[218:219], s[46:47], v[136:137]
	v_add_f64 v[110:111], v[2:3], v[222:223]
	v_fmac_f64_e32 v[214:215], s[58:59], v[148:149]
	v_add_f64 v[110:111], v[218:219], v[110:111]
	v_fmac_f64_e32 v[108:109], s[34:35], v[158:159]
	v_add_f64 v[110:111], v[214:215], v[110:111]
	v_fmac_f64_e32 v[104:105], s[40:41], v[170:171]
	v_add_f64 v[108:109], v[108:109], v[110:111]
	v_fmac_f64_e32 v[100:101], s[56:57], v[182:183]
	v_add_f64 v[104:105], v[104:105], v[108:109]
	v_fma_f64 v[214:215], v[122:123], s[22:23], -v[240:241]
	v_mul_f64 v[230:231], v[160:161], s[18:19]
	v_fmac_f64_e32 v[98:99], s[24:25], v[196:197]
	v_add_f64 v[100:101], v[100:101], v[104:105]
	v_fma_f64 v[108:109], v[138:139], s[6:7], -v[232:233]
	v_fma_f64 v[110:111], v[130:131], s[30:31], -v[236:237]
	v_add_f64 v[214:215], v[0:1], v[214:215]
	v_mul_f64 v[226:227], v[172:173], s[36:37]
	v_fma_f64 v[232:233], s[56:57], v[126:127], v[230:231]
	v_mov_b64_e32 v[254:255], v[244:245]
	v_mul_f64 v[244:245], v[140:141], s[20:21]
	v_add_f64 v[98:99], v[98:99], v[100:101]
	v_fma_f64 v[100:101], v[180:181], s[4:5], -v[106:107]
	v_fma_f64 v[106:107], v[146:147], s[16:17], -v[228:229]
	v_add_f64 v[110:111], v[110:111], v[214:215]
	v_mul_f64 v[222:223], v[184:185], s[22:23]
	v_fma_f64 v[228:229], s[54:55], v[136:137], v[226:227]
	v_add_f64 v[232:233], v[2:3], v[232:233]
	v_mul_f64 v[240:241], v[152:153], s[40:41]
	v_accvgpr_write_b32 a0, v246
	v_fma_f64 v[246:247], s[18:19], v[122:123], v[244:245]
	v_fma_f64 v[104:105], v[156:157], s[36:37], -v[224:225]
	v_add_f64 v[108:109], v[108:109], v[110:111]
	v_mul_f64 v[218:219], v[198:199], s[4:5]
	v_fma_f64 v[224:225], s[38:39], v[148:149], v[222:223]
	v_add_f64 v[228:229], v[228:229], v[232:233]
	v_mul_f64 v[238:239], v[164:165], s[44:45]
	v_fma_f64 v[242:243], s[36:37], v[130:131], v[240:241]
	v_add_f64 v[246:247], v[0:1], v[246:247]
	v_fmac_f64_e32 v[96:97], s[28:29], v[210:211]
	v_add_f64 v[106:107], v[106:107], v[108:109]
	v_mul_f64 v[214:215], v[204:205], s[16:17]
	v_fma_f64 v[220:221], s[24:25], v[158:159], v[218:219]
	v_add_f64 v[224:225], v[224:225], v[228:229]
	v_mul_f64 v[236:237], v[178:179], s[52:53]
	v_add_f64 v[242:243], v[242:243], v[246:247]
	v_fma_f64 v[246:247], s[22:23], v[138:139], v[238:239]
	v_add_f64 v[98:99], v[96:97], v[98:99]
	v_fma_f64 v[96:97], v[190:191], s[26:27], -v[102:103]
	v_fma_f64 v[102:103], v[168:169], s[18:19], -v[216:217]
	v_add_f64 v[104:105], v[104:105], v[106:107]
	v_mul_f64 v[108:109], v[188:189], s[30:31]
	v_fma_f64 v[216:217], s[48:49], v[170:171], v[214:215]
	v_add_f64 v[220:221], v[220:221], v[224:225]
	v_mul_f64 v[232:233], v[192:193], s[34:35]
	v_add_f64 v[242:243], v[246:247], v[242:243]
	v_fma_f64 v[246:247], s[4:5], v[146:147], v[236:237]
	v_add_f64 v[102:103], v[102:103], v[104:105]
	v_mul_f64 v[106:107], v[200:201], s[26:27]
	v_fma_f64 v[110:111], s[46:47], v[182:183], v[108:109]
	v_add_f64 v[216:217], v[216:217], v[220:221]
	v_mul_f64 v[224:225], v[202:203], s[42:43]
	v_fma_f64 v[234:235], s[16:17], v[156:157], v[232:233]
	v_add_f64 v[242:243], v[246:247], v[242:243]
	v_add_f64 v[100:101], v[100:101], v[102:103]
	v_mul_f64 v[104:105], v[206:207], s[6:7]
	v_fma_f64 v[102:103], s[28:29], v[196:197], v[106:107]
	v_add_f64 v[110:111], v[110:111], v[216:217]
	v_mul_f64 v[220:221], v[208:209], s[50:51]
	v_fma_f64 v[228:229], s[30:31], v[168:169], v[224:225]
	v_add_f64 v[234:235], v[234:235], v[242:243]
	v_add_f64 v[96:97], v[96:97], v[100:101]
	v_fma_f64 v[100:101], s[14:15], v[210:211], v[104:105]
	v_add_f64 v[102:103], v[102:103], v[110:111]
	v_mul_f64 v[216:217], v[212:213], s[58:59]
	v_fma_f64 v[110:111], s[26:27], v[180:181], v[220:221]
	v_add_f64 v[228:229], v[228:229], v[234:235]
	v_add_f64 v[102:103], v[100:101], v[102:103]
	v_fma_f64 v[100:101], s[6:7], v[190:191], v[216:217]
	v_add_f64 v[110:111], v[110:111], v[228:229]
	v_fmac_f64_e32 v[230:231], s[20:21], v[126:127]
	v_add_f64 v[100:101], v[100:101], v[110:111]
	v_fmac_f64_e32 v[226:227], s[40:41], v[136:137]
	;; [unrolled: 2-line block ×8, first 2 shown]
	v_add_f64 v[106:107], v[106:107], v[108:109]
	v_fma_f64 v[222:223], v[122:123], s[18:19], -v[244:245]
	v_add_f64 v[110:111], v[104:105], v[106:107]
	v_fma_f64 v[106:107], v[180:181], s[26:27], -v[220:221]
	v_fma_f64 v[218:219], v[138:139], s[22:23], -v[238:239]
	;; [unrolled: 1-line block ×3, first 2 shown]
	v_add_f64 v[222:223], v[0:1], v[222:223]
	v_mul_f64 v[238:239], v[160:161], s[16:17]
	v_add_f64 v[220:221], v[220:221], v[222:223]
	v_mul_f64 v[234:235], v[172:173], s[26:27]
	v_fma_f64 v[240:241], s[48:49], v[126:127], v[238:239]
	v_fma_f64 v[104:105], v[190:191], s[6:7], -v[216:217]
	v_fma_f64 v[216:217], v[146:147], s[4:5], -v[236:237]
	v_add_f64 v[218:219], v[218:219], v[220:221]
	v_mul_f64 v[230:231], v[184:185], s[36:37]
	v_fma_f64 v[236:237], s[50:51], v[136:137], v[234:235]
	v_add_f64 v[240:241], v[2:3], v[240:241]
	v_fma_f64 v[214:215], v[156:157], s[16:17], -v[232:233]
	v_add_f64 v[216:217], v[216:217], v[218:219]
	v_mul_f64 v[226:227], v[198:199], s[22:23]
	v_fma_f64 v[232:233], s[40:41], v[148:149], v[230:231]
	v_add_f64 v[236:237], v[236:237], v[240:241]
	;; [unrolled: 5-line block ×3, first 2 shown]
	v_add_f64 v[108:109], v[108:109], v[214:215]
	v_mul_f64 v[218:219], v[188:189], s[4:5]
	v_fma_f64 v[224:225], s[14:15], v[170:171], v[222:223]
	v_add_f64 v[228:229], v[228:229], v[232:233]
	v_add_f64 v[106:107], v[106:107], v[108:109]
	v_mul_f64 v[216:217], v[200:201], s[18:19]
	v_fma_f64 v[220:221], s[52:53], v[182:183], v[218:219]
	v_add_f64 v[224:225], v[224:225], v[228:229]
	;; [unrolled: 4-line block ×3, first 2 shown]
	v_mul_f64 v[244:245], v[140:141], s[34:35]
	v_fma_f64 v[104:105], s[46:47], v[210:211], v[214:215]
	v_add_f64 v[106:107], v[106:107], v[220:221]
	v_mul_f64 v[242:243], v[152:153], s[28:29]
	v_fma_f64 v[246:247], s[16:17], v[122:123], v[244:245]
	v_fmac_f64_e32 v[238:239], s[34:35], v[126:127]
	v_add_f64 v[106:107], v[104:105], v[106:107]
	v_mul_f64 v[240:241], v[164:165], s[54:55]
	v_fma_f64 v[104:105], s[26:27], v[130:131], v[242:243]
	v_add_f64 v[246:247], v[0:1], v[246:247]
	v_fmac_f64_e32 v[234:235], s[28:29], v[136:137]
	v_add_f64 v[238:239], v[2:3], v[238:239]
	v_mul_f64 v[236:237], v[178:179], s[44:45]
	v_add_f64 v[104:105], v[104:105], v[246:247]
	v_fma_f64 v[246:247], s[36:37], v[138:139], v[240:241]
	v_add_f64 v[234:235], v[234:235], v[238:239]
	v_fmac_f64_e32 v[230:231], s[54:55], v[148:149]
	v_mul_f64 v[232:233], v[192:193], s[58:59]
	v_add_f64 v[104:105], v[246:247], v[104:105]
	v_fma_f64 v[246:247], s[22:23], v[146:147], v[236:237]
	v_add_f64 v[230:231], v[230:231], v[234:235]
	v_fmac_f64_e32 v[226:227], s[44:45], v[158:159]
	;; [unrolled: 5-line block ×5, first 2 shown]
	v_fma_f64 v[244:245], v[122:123], s[16:17], -v[244:245]
	v_add_f64 v[104:105], v[246:247], v[104:105]
	v_fma_f64 v[246:247], s[30:31], v[190:191], v[220:221]
	v_add_f64 v[216:217], v[216:217], v[218:219]
	v_fma_f64 v[242:243], v[130:131], s[26:27], -v[242:243]
	v_add_f64 v[244:245], v[0:1], v[244:245]
	v_fmac_f64_e32 v[214:215], s[42:43], v[210:211]
	v_add_f64 v[104:105], v[246:247], v[104:105]
	v_mul_f64 v[246:247], v[160:161], s[4:5]
	v_add_f64 v[242:243], v[242:243], v[244:245]
	v_add_f64 v[216:217], v[214:215], v[216:217]
	v_fma_f64 v[214:215], v[190:191], s[30:31], -v[220:221]
	v_fma_f64 v[220:221], v[180:181], s[18:19], -v[224:225]
	;; [unrolled: 1-line block ×6, first 2 shown]
	v_mul_f64 v[160:161], v[160:161], s[6:7]
	v_mul_f64 v[238:239], v[172:173], s[6:7]
	v_add_f64 v[236:237], v[236:237], v[242:243]
	v_mul_f64 v[172:173], v[172:173], s[18:19]
	v_fma_f64 v[242:243], s[58:59], v[126:127], v[160:161]
	v_mul_f64 v[230:231], v[184:185], s[16:17]
	v_mul_f64 v[244:245], v[204:205], s[22:23]
	;; [unrolled: 1-line block ×4, first 2 shown]
	v_fma_f64 v[204:205], s[56:57], v[136:137], v[172:173]
	v_add_f64 v[242:243], v[2:3], v[242:243]
	v_mul_f64 v[222:223], v[198:199], s[18:19]
	v_mul_f64 v[198:199], v[198:199], s[36:37]
	v_add_f64 v[204:205], v[204:205], v[242:243]
	v_fma_f64 v[242:243], s[50:51], v[148:149], v[184:185]
	v_add_f64 v[232:233], v[232:233], v[236:237]
	v_add_f64 v[204:205], v[242:243], v[204:205]
	v_fma_f64 v[242:243], s[54:55], v[158:159], v[198:199]
	v_add_f64 v[228:229], v[228:229], v[232:233]
	v_mul_f64 v[236:237], v[188:189], s[22:23]
	v_add_f64 v[204:205], v[242:243], v[204:205]
	v_fma_f64 v[242:243], s[42:43], v[170:171], v[240:241]
	v_add_f64 v[224:225], v[224:225], v[228:229]
	v_mul_f64 v[228:229], v[200:201], s[16:17]
	v_add_f64 v[204:205], v[242:243], v[204:205]
	v_fma_f64 v[242:243], s[38:39], v[182:183], v[236:237]
	v_fma_f64 v[232:233], s[34:35], v[196:197], v[228:229]
	v_add_f64 v[204:205], v[242:243], v[204:205]
	v_mul_f64 v[186:187], v[122:123], s[4:5]
	v_add_f64 v[204:205], v[232:233], v[204:205]
	v_mul_f64 v[232:233], v[140:141], s[14:15]
	v_fma_f64 v[140:141], s[6:7], v[122:123], v[232:233]
	v_fmac_f64_e32 v[160:161], s[14:15], v[126:127]
	v_fma_f64 v[122:123], v[122:123], s[6:7], -v[232:233]
	v_add_f64 v[118:119], v[118:119], v[246:247]
	v_add_f64 v[116:117], v[186:187], -v[116:117]
	v_add_f64 v[140:141], v[0:1], v[140:141]
	v_add_f64 v[126:127], v[2:3], v[160:161]
	;; [unrolled: 1-line block ×11, first 2 shown]
	v_mul_f64 v[220:221], v[206:207], s[4:5]
	v_add_f64 v[2:3], v[18:19], v[2:3]
	v_add_f64 v[0:1], v[16:17], v[0:1]
	v_fma_f64 v[224:225], s[24:25], v[210:211], v[220:221]
	v_mul_f64 v[152:153], v[152:153], s[20:21]
	v_add_f64 v[2:3], v[22:23], v[2:3]
	v_add_f64 v[0:1], v[20:21], v[0:1]
	v_mul_f64 v[248:249], v[130:131], s[6:7]
	v_add_f64 v[204:205], v[224:225], v[204:205]
	v_mul_f64 v[224:225], v[202:203], s[44:45]
	v_mul_f64 v[164:165], v[164:165], s[28:29]
	v_fma_f64 v[202:203], s[18:19], v[130:131], v[152:153]
	v_fmac_f64_e32 v[172:173], s[20:21], v[136:137]
	v_fma_f64 v[130:131], v[130:131], s[18:19], -v[152:153]
	v_add_f64 v[2:3], v[14:15], v[2:3]
	v_add_f64 v[0:1], v[12:13], v[0:1]
	v_mul_f64 v[234:235], v[138:139], s[16:17]
	v_mul_f64 v[178:179], v[178:179], s[40:41]
	v_add_f64 v[140:141], v[202:203], v[140:141]
	v_fma_f64 v[202:203], s[26:27], v[138:139], v[164:165]
	v_fmac_f64_e32 v[184:185], s[28:29], v[148:149]
	v_add_f64 v[126:127], v[172:173], v[126:127]
	v_fma_f64 v[138:139], v[138:139], s[26:27], -v[164:165]
	v_add_f64 v[122:123], v[130:131], v[122:123]
	v_add_f64 v[2:3], v[30:31], v[2:3]
	;; [unrolled: 1-line block ×3, first 2 shown]
	v_mul_f64 v[226:227], v[146:147], s[18:19]
	v_mul_f64 v[192:193], v[192:193], s[46:47]
	v_add_f64 v[140:141], v[202:203], v[140:141]
	v_fma_f64 v[202:203], s[36:37], v[146:147], v[178:179]
	v_fmac_f64_e32 v[198:199], s[40:41], v[158:159]
	v_add_f64 v[126:127], v[184:185], v[126:127]
	v_fma_f64 v[146:147], v[146:147], s[36:37], -v[178:179]
	v_add_f64 v[122:123], v[138:139], v[122:123]
	v_add_f64 v[2:3], v[26:27], v[2:3]
	;; [unrolled: 1-line block ×3, first 2 shown]
	v_mul_f64 v[218:219], v[156:157], s[22:23]
	v_add_f64 v[140:141], v[202:203], v[140:141]
	v_fma_f64 v[202:203], s[30:31], v[156:157], v[192:193]
	v_fmac_f64_e32 v[240:241], s[46:47], v[170:171]
	v_add_f64 v[126:127], v[198:199], v[126:127]
	v_fma_f64 v[156:157], v[156:157], s[30:31], -v[192:193]
	v_add_f64 v[122:123], v[146:147], v[122:123]
	v_add_f64 v[124:125], v[124:125], v[238:239]
	;; [unrolled: 1-line block ×4, first 2 shown]
	v_mul_f64 v[208:209], v[208:209], s[48:49]
	v_add_f64 v[140:141], v[202:203], v[140:141]
	v_fma_f64 v[202:203], s[22:23], v[168:169], v[224:225]
	v_fmac_f64_e32 v[236:237], s[44:45], v[182:183]
	v_add_f64 v[126:127], v[240:241], v[126:127]
	v_fma_f64 v[148:149], v[168:169], s[22:23], -v[224:225]
	v_add_f64 v[122:123], v[156:157], v[122:123]
	v_add_f64 v[132:133], v[132:133], v[230:231]
	v_add_f64 v[118:119], v[124:125], v[118:119]
	v_add_f64 v[2:3], v[42:43], v[2:3]
	v_add_f64 v[0:1], v[40:41], v[0:1]
	v_mul_f64 v[212:213], v[212:213], s[52:53]
	v_add_f64 v[140:141], v[202:203], v[140:141]
	v_fma_f64 v[202:203], s[16:17], v[180:181], v[208:209]
	v_fmac_f64_e32 v[228:229], s[48:49], v[196:197]
	v_add_f64 v[126:127], v[236:237], v[126:127]
	v_fma_f64 v[136:137], v[180:181], s[16:17], -v[208:209]
	v_add_f64 v[122:123], v[148:149], v[122:123]
	v_add_f64 v[142:143], v[142:143], v[222:223]
	;; [unrolled: 1-line block ×3, first 2 shown]
	v_add_f64 v[120:121], v[248:249], -v[120:121]
	v_add_f64 v[2:3], v[38:39], v[2:3]
	v_add_f64 v[0:1], v[36:37], v[0:1]
	;; [unrolled: 1-line block ×3, first 2 shown]
	v_fma_f64 v[202:203], s[4:5], v[190:191], v[212:213]
	v_mul_f64 v[188:189], v[188:189], s[26:27]
	v_fmac_f64_e32 v[220:221], s[52:53], v[210:211]
	v_add_f64 v[126:127], v[228:229], v[126:127]
	v_add_f64 v[122:123], v[136:137], v[122:123]
	;; [unrolled: 1-line block ×4, first 2 shown]
	v_add_f64 v[128:129], v[234:235], -v[128:129]
	v_add_f64 v[116:117], v[120:121], v[116:117]
	v_add_f64 v[2:3], v[46:47], v[2:3]
	;; [unrolled: 1-line block ×4, first 2 shown]
	v_mul_f64 v[200:201], v[200:201], s[30:31]
	v_add_f64 v[140:141], v[220:221], v[126:127]
	v_fma_f64 v[126:127], v[190:191], s[4:5], -v[212:213]
	v_add_f64 v[130:131], v[162:163], v[188:189]
	v_add_f64 v[118:119], v[136:137], v[118:119]
	v_add_f64 v[132:133], v[226:227], -v[134:135]
	v_add_f64 v[116:117], v[128:129], v[116:117]
	v_add_f64 v[2:3], v[50:51], v[2:3]
	;; [unrolled: 1-line block ×3, first 2 shown]
	v_mul_f64 v[242:243], v[168:169], s[26:27]
	v_add_f64 v[138:139], v[126:127], v[122:123]
	v_add_f64 v[126:127], v[174:175], v[200:201]
	;; [unrolled: 1-line block ×3, first 2 shown]
	v_add_f64 v[130:131], v[218:219], -v[144:145]
	v_add_f64 v[116:117], v[132:133], v[116:117]
	v_add_f64 v[2:3], v[54:55], v[2:3]
	;; [unrolled: 1-line block ×3, first 2 shown]
	v_mul_f64 v[250:251], v[180:181], s[30:31]
	v_mul_f64 v[206:207], v[206:207], s[36:37]
	v_mov_b64_e32 v[244:245], v[254:255]
	v_add_f64 v[118:119], v[126:127], v[118:119]
	v_add_f64 v[126:127], v[242:243], -v[154:155]
	v_add_f64 v[116:117], v[130:131], v[116:117]
	v_add_f64 v[2:3], v[58:59], v[2:3]
	;; [unrolled: 1-line block ×3, first 2 shown]
	v_mul_f64 v[210:211], v[190:191], s[36:37]
	v_add_f64 v[122:123], v[194:195], v[206:207]
	v_add_f64 v[124:125], v[250:251], -v[166:167]
	v_add_f64 v[116:117], v[126:127], v[116:117]
	v_add_f64 v[2:3], v[62:63], v[2:3]
	;; [unrolled: 1-line block ×3, first 2 shown]
	v_mul_lo_u16_e32 v4, 17, v244
	v_accvgpr_read_b32 v246, a0
	v_add_f64 v[118:119], v[122:123], v[118:119]
	v_add_f64 v[122:123], v[210:211], -v[176:177]
	v_add_f64 v[116:117], v[124:125], v[116:117]
	v_add_f64 v[2:3], v[66:67], v[2:3]
	;; [unrolled: 1-line block ×3, first 2 shown]
	v_lshlrev_b32_e32 v4, 4, v4
	v_add_f64 v[116:117], v[122:123], v[116:117]
	ds_write_b128 v4, v[0:3]
	ds_write_b128 v4, v[116:119] offset:16
	ds_write_b128 v4, v[138:141] offset:32
	;; [unrolled: 1-line block ×16, first 2 shown]
.LBB0_7:
	s_or_b64 exec, exec, s[0:1]
	s_mov_b64 s[0:1], 0xcc
	v_lshl_add_u64 v[80:81], v[244:245], 0, s[0:1]
	s_mov_b64 s[0:1], 0x132
	v_lshl_add_u64 v[6:7], v[244:245], 0, s[0:1]
	s_mov_b64 s[0:1], 0x198
	v_lshl_add_u64 v[4:5], v[244:245], 0, s[0:1]
	s_mov_b64 s[0:1], 0x264
	v_lshl_add_u64 v[0:1], v[244:245], 0, s[0:1]
	s_mov_b64 s[0:1], 0x2ca
	v_lshl_add_u64 v[2:3], v[244:245], 0, s[0:1]
	s_movk_i32 s0, 0xf1
	v_mul_lo_u16_sdwa v1, v244, s0 dst_sel:DWORD dst_unused:UNUSED_PAD src0_sel:BYTE_0 src1_sel:DWORD
	v_lshrrev_b16_e32 v71, 12, v1
	v_mul_lo_u16_e32 v3, 17, v71
	v_sub_u16_e32 v3, v244, v3
	v_add_u16_e32 v5, 0x66, v244
	v_and_b32_e32 v81, 0xff, v3
	v_mul_lo_u16_sdwa v3, v5, s0 dst_sel:DWORD dst_unused:UNUSED_PAD src0_sel:BYTE_0 src1_sel:DWORD
	v_lshrrev_b16_e32 v118, 12, v3
	v_mul_lo_u16_e32 v8, 17, v118
	s_mov_b32 s0, 0xf0f1
	v_sub_u16_e32 v8, v5, v8
	v_mul_u32_u24_sdwa v13, v80, s0 dst_sel:DWORD dst_unused:UNUSED_PAD src0_sel:WORD_0 src1_sel:DWORD
	v_lshlrev_b32_e32 v7, 4, v81
	v_and_b32_e32 v119, 0xff, v8
	v_lshrrev_b32_e32 v120, 20, v13
	v_mul_u32_u24_sdwa v12, v6, s0 dst_sel:DWORD dst_unused:UNUSED_PAD src0_sel:WORD_0 src1_sel:DWORD
	s_load_dwordx4 s[4:7], s[2:3], 0x0
	s_waitcnt lgkmcnt(0)
	s_barrier
	v_lshlrev_b32_e32 v8, 4, v119
	global_load_dwordx4 v[86:89], v7, s[10:11]
	global_load_dwordx4 v[248:251], v8, s[10:11]
	v_mul_lo_u16_e32 v7, 17, v120
	v_lshrrev_b32_e32 v122, 20, v12
	v_sub_u16_e32 v121, v80, v7
	v_mul_lo_u16_e32 v8, 17, v122
	v_mul_u32_u24_sdwa v11, v4, s0 dst_sel:DWORD dst_unused:UNUSED_PAD src0_sel:WORD_0 src1_sel:DWORD
	v_lshlrev_b32_e32 v7, 4, v121
	v_sub_u16_e32 v123, v6, v8
	v_lshrrev_b32_e32 v124, 20, v11
	v_lshlrev_b32_e32 v8, 4, v123
	global_load_dwordx4 v[94:97], v7, s[10:11]
	global_load_dwordx4 v[98:101], v8, s[10:11]
	v_mul_lo_u16_e32 v7, 17, v124
	v_sub_u16_e32 v125, v4, v7
	v_add_u16_e32 v7, 0x1fe, v244
	v_mul_u32_u24_e32 v10, 0xf0f1, v7
	v_lshrrev_b32_e32 v126, 20, v10
	v_mul_lo_u16_e32 v9, 17, v126
	v_lshlrev_b32_e32 v8, 4, v125
	v_sub_u16_e32 v127, v7, v9
	v_lshlrev_b32_e32 v9, 4, v127
	global_load_dwordx4 v[102:105], v8, s[10:11]
	global_load_dwordx4 v[106:109], v9, s[10:11]
	v_mul_u32_u24_sdwa v8, v0, s0 dst_sel:DWORD dst_unused:UNUSED_PAD src0_sel:WORD_0 src1_sel:DWORD
	v_lshrrev_b32_e32 v128, 20, v8
	v_mul_lo_u16_e32 v9, 17, v128
	v_sub_u16_e32 v129, v0, v9
	v_mul_u32_u24_sdwa v9, v2, s0 dst_sel:DWORD dst_unused:UNUSED_PAD src0_sel:WORD_0 src1_sel:DWORD
	v_lshlrev_b32_e32 v14, 4, v129
	v_lshrrev_b32_e32 v130, 20, v9
	global_load_dwordx4 v[136:139], v14, s[10:11]
	v_mul_lo_u16_e32 v14, 17, v130
	v_sub_u16_e32 v131, v2, v14
	v_lshlrev_b32_e32 v14, 4, v131
	global_load_dwordx4 v[132:135], v14, s[10:11]
	v_mov_b32_e32 v14, 4
	v_lshlrev_b32_sdwa v70, v14, v244 dst_sel:DWORD dst_unused:UNUSED_PAD src0_sel:DWORD src1_sel:WORD_0
	ds_read_b128 v[14:17], v70
	ds_read_b128 v[18:21], v70 offset:1632
	ds_read_b128 v[22:25], v70 offset:13056
	;; [unrolled: 1-line block ×15, first 2 shown]
	v_mul_lo_u16_e32 v71, 34, v71
	v_and_b32_e32 v71, 0xfe, v71
	v_add_lshl_u32 v247, v71, v81, 4
	s_waitcnt lgkmcnt(0)
	s_barrier
	v_lshrrev_b16_e32 v71, 13, v1
	v_mul_lo_u16_e32 v1, 34, v71
	v_sub_u16_e32 v1, v244, v1
	v_and_b32_e32 v81, 0xff, v1
	v_lshlrev_b32_e32 v1, 4, v81
	s_movk_i32 s14, 0x44
	v_cmp_gt_u16_e64 s[0:1], 34, v244
                                        ; implicit-def: $vgpr148_vgpr149
	s_waitcnt vmcnt(7)
	v_mul_f64 v[82:83], v[24:25], v[88:89]
	v_fma_f64 v[82:83], v[22:23], v[86:87], -v[82:83]
	v_mul_f64 v[84:85], v[22:23], v[88:89]
	v_accvgpr_write_b32 a6, v86
	s_waitcnt vmcnt(6)
	v_mul_f64 v[22:23], v[28:29], v[250:251]
	v_accvgpr_write_b32 a7, v87
	v_accvgpr_write_b32 a8, v88
	;; [unrolled: 1-line block ×3, first 2 shown]
	v_fmac_f64_e32 v[84:85], v[24:25], v[86:87]
	v_fma_f64 v[86:87], v[26:27], v[248:249], -v[22:23]
	s_waitcnt vmcnt(5)
	v_mul_f64 v[22:23], v[40:41], v[96:97]
	v_fma_f64 v[90:91], v[38:39], v[94:95], -v[22:23]
	v_mul_f64 v[92:93], v[38:39], v[96:97]
	v_accvgpr_write_b32 a14, v94
	s_waitcnt vmcnt(4)
	v_mul_f64 v[22:23], v[44:45], v[100:101]
	v_accvgpr_write_b32 a15, v95
	v_accvgpr_write_b32 a16, v96
	v_accvgpr_write_b32 a17, v97
	v_fmac_f64_e32 v[92:93], v[40:41], v[94:95]
	v_fma_f64 v[94:95], v[42:43], v[98:99], -v[22:23]
	v_mul_f64 v[96:97], v[42:43], v[100:101]
	v_accvgpr_write_b32 a10, v98
	s_waitcnt vmcnt(3)
	v_mul_f64 v[22:23], v[56:57], v[104:105]
	v_accvgpr_write_b32 a11, v99
	v_accvgpr_write_b32 a12, v100
	v_accvgpr_write_b32 a13, v101
	v_fmac_f64_e32 v[96:97], v[44:45], v[98:99]
	;; [unrolled: 9-line block ×4, first 2 shown]
	v_fma_f64 v[106:107], v[72:73], v[136:137], -v[22:23]
	s_waitcnt vmcnt(0)
	v_mul_f64 v[22:23], v[78:79], v[134:135]
	v_mul_f64 v[88:89], v[26:27], v[250:251]
	v_fma_f64 v[110:111], v[76:77], v[132:133], -v[22:23]
	v_add_f64 v[22:23], v[14:15], -v[82:83]
	v_add_f64 v[24:25], v[16:17], -v[84:85]
	v_fmac_f64_e32 v[88:89], v[28:29], v[248:249]
	v_fma_f64 v[14:15], v[14:15], 2.0, -v[22:23]
	v_fma_f64 v[16:17], v[16:17], 2.0, -v[24:25]
	v_add_f64 v[26:27], v[18:19], -v[86:87]
	v_add_f64 v[28:29], v[20:21], -v[88:89]
	ds_write_b128 v247, v[14:17]
	ds_write_b128 v247, v[22:25] offset:272
	v_mul_u32_u24_e32 v14, 34, v118
	v_fma_f64 v[18:19], v[18:19], 2.0, -v[26:27]
	v_fma_f64 v[20:21], v[20:21], 2.0, -v[28:29]
	v_add_lshl_u32 v14, v14, v119, 4
	v_add_f64 v[38:39], v[30:31], -v[90:91]
	v_add_f64 v[40:41], v[32:33], -v[92:93]
	ds_write_b128 v14, v[18:21]
	v_accvgpr_write_b32 a1, v14
	ds_write_b128 v14, v[26:29] offset:272
	v_mad_legacy_u16 v14, v120, 34, v121
	v_fma_f64 v[30:31], v[30:31], 2.0, -v[38:39]
	v_fma_f64 v[32:33], v[32:33], 2.0, -v[40:41]
	v_lshlrev_b32_e32 v14, 4, v14
	v_add_f64 v[42:43], v[34:35], -v[94:95]
	v_add_f64 v[44:45], v[36:37], -v[96:97]
	ds_write_b128 v14, v[30:33]
	v_accvgpr_write_b32 a34, v14
	ds_write_b128 v14, v[38:41] offset:272
	v_mad_legacy_u16 v14, v122, 34, v123
	v_fma_f64 v[34:35], v[34:35], 2.0, -v[42:43]
	v_fma_f64 v[36:37], v[36:37], 2.0, -v[44:45]
	v_lshlrev_b32_e32 v14, 4, v14
	;; [unrolled: 9-line block ×3, first 2 shown]
	v_mul_f64 v[108:109], v[72:73], v[138:139]
	v_add_f64 v[58:59], v[50:51], -v[102:103]
	v_add_f64 v[60:61], v[52:53], -v[104:105]
	ds_write_b128 v14, v[46:49]
	v_accvgpr_write_b32 a36, v14
	ds_write_b128 v14, v[54:57] offset:272
	v_mad_legacy_u16 v14, v126, 34, v127
	v_fmac_f64_e32 v[108:109], v[74:75], v[136:137]
	v_fma_f64 v[50:51], v[50:51], 2.0, -v[58:59]
	v_fma_f64 v[52:53], v[52:53], 2.0, -v[60:61]
	v_lshlrev_b32_e32 v14, 4, v14
	v_mul_f64 v[116:117], v[76:77], v[134:135]
	v_add_f64 v[72:73], v[62:63], -v[106:107]
	v_add_f64 v[74:75], v[64:65], -v[108:109]
	ds_write_b128 v14, v[50:53]
	v_accvgpr_write_b32 a37, v14
	ds_write_b128 v14, v[58:61] offset:272
	v_mad_legacy_u16 v14, v128, 34, v129
	v_lshrrev_b16_e32 v106, 13, v3
	v_fmac_f64_e32 v[116:117], v[78:79], v[132:133]
	v_fma_f64 v[62:63], v[62:63], 2.0, -v[72:73]
	v_fma_f64 v[64:65], v[64:65], 2.0, -v[74:75]
	v_lshlrev_b32_e32 v14, 4, v14
	v_mul_lo_u16_e32 v3, 34, v106
	v_add_f64 v[76:77], v[66:67], -v[110:111]
	v_add_f64 v[78:79], v[68:69], -v[116:117]
	ds_write_b128 v14, v[62:65]
	v_accvgpr_write_b32 a38, v14
	ds_write_b128 v14, v[72:75] offset:272
	v_mad_legacy_u16 v14, v130, 34, v131
	v_sub_u16_e32 v3, v5, v3
	v_fma_f64 v[66:67], v[66:67], 2.0, -v[76:77]
	v_fma_f64 v[68:69], v[68:69], 2.0, -v[78:79]
	v_lshlrev_b32_e32 v14, 4, v14
	v_and_b32_e32 v107, 0xff, v3
	v_lshrrev_b32_e32 v108, 21, v13
	ds_write_b128 v14, v[66:69]
	ds_write_b128 v14, v[76:79] offset:272
	s_waitcnt lgkmcnt(0)
	s_barrier
	v_lshlrev_b32_e32 v3, 4, v107
	global_load_dwordx4 v[88:91], v1, s[10:11] offset:272
	global_load_dwordx4 v[84:87], v3, s[10:11] offset:272
	v_mul_lo_u16_e32 v1, 34, v108
	v_lshrrev_b32_e32 v110, 21, v12
	v_sub_u16_e32 v109, v80, v1
	v_mul_lo_u16_e32 v3, 34, v110
	v_lshlrev_b32_e32 v1, 4, v109
	v_sub_u16_e32 v111, v6, v3
	v_lshrrev_b32_e32 v120, 21, v11
	v_lshlrev_b32_e32 v3, 4, v111
	global_load_dwordx4 v[96:99], v1, s[10:11] offset:272
	global_load_dwordx4 v[92:95], v3, s[10:11] offset:272
	v_mul_lo_u16_e32 v1, 34, v120
	v_lshrrev_b32_e32 v122, 21, v10
	v_sub_u16_e32 v121, v4, v1
	v_mul_lo_u16_e32 v3, 34, v122
	v_lshlrev_b32_e32 v1, 4, v121
	v_sub_u16_e32 v123, v7, v3
	global_load_dwordx4 v[116:119], v1, s[10:11] offset:272
	v_lshlrev_b32_e32 v1, 4, v123
	v_lshrrev_b32_e32 v124, 21, v8
	global_load_dwordx4 v[100:103], v1, s[10:11] offset:272
	v_mul_lo_u16_e32 v1, 34, v124
	v_sub_u16_e32 v125, v0, v1
	v_accvgpr_write_b32 a26, v132
	v_lshlrev_b32_e32 v0, 4, v125
	v_lshrrev_b32_e32 v126, 21, v9
	v_accvgpr_write_b32 a27, v133
	v_accvgpr_write_b32 a28, v134
	;; [unrolled: 1-line block ×3, first 2 shown]
	global_load_dwordx4 v[132:135], v0, s[10:11] offset:272
	v_mul_lo_u16_e32 v0, 34, v126
	v_sub_u16_e32 v127, v2, v0
	v_lshlrev_b32_e32 v0, 4, v127
	global_load_dwordx4 v[128:131], v0, s[10:11] offset:272
	v_accvgpr_write_b32 a39, v14
	ds_read_b128 v[0:3], v70
	ds_read_b128 v[14:17], v70 offset:1632
	ds_read_b128 v[18:21], v70 offset:13056
	;; [unrolled: 1-line block ×15, first 2 shown]
	s_waitcnt lgkmcnt(0)
	s_barrier
	v_accvgpr_write_b32 a30, v136
	v_accvgpr_write_b32 a31, v137
	;; [unrolled: 1-line block ×4, first 2 shown]
	s_waitcnt vmcnt(7)
	v_mul_f64 v[8:9], v[20:21], v[90:91]
	v_fma_f64 v[8:9], v[18:19], v[88:89], -v[8:9]
	v_mul_f64 v[76:77], v[18:19], v[90:91]
	s_waitcnt vmcnt(6)
	v_mul_f64 v[18:19], v[24:25], v[86:87]
	v_fma_f64 v[78:79], v[22:23], v[84:85], -v[18:19]
	v_mul_f64 v[82:83], v[22:23], v[86:87]
	v_accvgpr_write_b32 a40, v84
	v_accvgpr_write_b32 a44, v88
	;; [unrolled: 1-line block ×3, first 2 shown]
	s_waitcnt vmcnt(5)
	v_mul_f64 v[18:19], v[36:37], v[98:99]
	v_accvgpr_write_b32 a42, v86
	v_accvgpr_write_b32 a43, v87
	v_fmac_f64_e32 v[82:83], v[24:25], v[84:85]
	v_fma_f64 v[84:85], v[34:35], v[96:97], -v[18:19]
	s_waitcnt vmcnt(4)
	v_mul_f64 v[18:19], v[40:41], v[94:95]
	v_accvgpr_write_b32 a45, v89
	v_accvgpr_write_b32 a46, v90
	;; [unrolled: 1-line block ×3, first 2 shown]
	v_fmac_f64_e32 v[76:77], v[20:21], v[88:89]
	v_fma_f64 v[88:89], v[38:39], v[92:93], -v[18:19]
	v_mul_f64 v[90:91], v[38:39], v[94:95]
	v_accvgpr_write_b32 a48, v92
	s_waitcnt vmcnt(3)
	v_mul_f64 v[18:19], v[52:53], v[118:119]
	v_mul_f64 v[86:87], v[34:35], v[98:99]
	v_accvgpr_write_b32 a52, v96
	v_accvgpr_write_b32 a49, v93
	;; [unrolled: 1-line block ×4, first 2 shown]
	v_fmac_f64_e32 v[90:91], v[40:41], v[92:93]
	v_fma_f64 v[92:93], v[50:51], v[116:117], -v[18:19]
	s_waitcnt vmcnt(2)
	v_mul_f64 v[18:19], v[56:57], v[102:103]
	v_accvgpr_write_b32 a53, v97
	v_accvgpr_write_b32 a54, v98
	;; [unrolled: 1-line block ×3, first 2 shown]
	v_fmac_f64_e32 v[86:87], v[36:37], v[96:97]
	v_fma_f64 v[96:97], v[54:55], v[100:101], -v[18:19]
	v_mul_f64 v[98:99], v[54:55], v[102:103]
	v_accvgpr_write_b32 a56, v100
	s_waitcnt vmcnt(1)
	v_mul_f64 v[18:19], v[68:69], v[134:135]
	v_accvgpr_write_b32 a57, v101
	v_accvgpr_write_b32 a58, v102
	;; [unrolled: 1-line block ×3, first 2 shown]
	v_fmac_f64_e32 v[98:99], v[56:57], v[100:101]
	v_fma_f64 v[100:101], v[66:67], v[132:133], -v[18:19]
	s_waitcnt vmcnt(0)
	v_mul_f64 v[18:19], v[74:75], v[130:131]
	v_fma_f64 v[104:105], v[72:73], v[128:129], -v[18:19]
	v_add_f64 v[18:19], v[0:1], -v[8:9]
	v_mul_lo_u16_e32 v8, 0x44, v71
	v_add_f64 v[20:21], v[2:3], -v[76:77]
	v_and_b32_e32 v8, 0xfc, v8
	v_fma_f64 v[0:1], v[0:1], 2.0, -v[18:19]
	v_fma_f64 v[2:3], v[2:3], 2.0, -v[20:21]
	v_add_lshl_u32 v8, v8, v81, 4
	v_add_f64 v[22:23], v[14:15], -v[78:79]
	v_add_f64 v[24:25], v[16:17], -v[82:83]
	ds_write_b128 v8, v[0:3]
	v_mul_u32_u24_e32 v0, 0x44, v106
	v_fma_f64 v[14:15], v[14:15], 2.0, -v[22:23]
	v_fma_f64 v[16:17], v[16:17], 2.0, -v[24:25]
	v_add_lshl_u32 v0, v0, v107, 4
	v_add_f64 v[34:35], v[26:27], -v[84:85]
	v_add_f64 v[36:37], v[28:29], -v[86:87]
	ds_write_b128 v8, v[18:21] offset:544
	ds_write_b128 v0, v[14:17]
	v_accvgpr_write_b32 a81, v0
	ds_write_b128 v0, v[22:25] offset:544
	v_mad_legacy_u16 v0, v108, s14, v109
	v_fma_f64 v[26:27], v[26:27], 2.0, -v[34:35]
	v_fma_f64 v[28:29], v[28:29], 2.0, -v[36:37]
	v_lshlrev_b32_e32 v0, 4, v0
	v_mul_f64 v[94:95], v[50:51], v[118:119]
	v_add_f64 v[38:39], v[30:31], -v[88:89]
	v_add_f64 v[40:41], v[32:33], -v[90:91]
	ds_write_b128 v0, v[26:29]
	v_accvgpr_write_b32 a82, v0
	ds_write_b128 v0, v[34:37] offset:544
	v_mad_legacy_u16 v0, v110, s14, v111
	v_fmac_f64_e32 v[94:95], v[52:53], v[116:117]
	v_fma_f64 v[30:31], v[30:31], 2.0, -v[38:39]
	v_fma_f64 v[32:33], v[32:33], 2.0, -v[40:41]
	v_lshlrev_b32_e32 v0, 4, v0
	v_add_f64 v[50:51], v[42:43], -v[92:93]
	v_add_f64 v[52:53], v[44:45], -v[94:95]
	ds_write_b128 v0, v[30:33]
	v_accvgpr_write_b32 a83, v0
	ds_write_b128 v0, v[38:41] offset:544
	v_mad_legacy_u16 v0, v120, s14, v121
	v_fma_f64 v[42:43], v[42:43], 2.0, -v[50:51]
	v_fma_f64 v[44:45], v[44:45], 2.0, -v[52:53]
	v_lshlrev_b32_e32 v0, 4, v0
	v_mul_f64 v[102:103], v[66:67], v[134:135]
	v_add_f64 v[54:55], v[46:47], -v[96:97]
	v_add_f64 v[56:57], v[48:49], -v[98:99]
	ds_write_b128 v0, v[42:45]
	v_accvgpr_write_b32 a84, v0
	ds_write_b128 v0, v[50:53] offset:544
	v_mad_legacy_u16 v0, v122, s14, v123
	v_fmac_f64_e32 v[102:103], v[68:69], v[132:133]
	v_fma_f64 v[46:47], v[46:47], 2.0, -v[54:55]
	v_fma_f64 v[48:49], v[48:49], 2.0, -v[56:57]
	v_lshlrev_b32_e32 v0, 4, v0
	v_mul_f64 v[72:73], v[72:73], v[130:131]
	v_add_f64 v[66:67], v[58:59], -v[100:101]
	v_add_f64 v[68:69], v[60:61], -v[102:103]
	ds_write_b128 v0, v[46:49]
	v_accvgpr_write_b32 a85, v0
	ds_write_b128 v0, v[54:57] offset:544
	v_mad_legacy_u16 v0, v124, s14, v125
	v_accvgpr_write_b32 a64, v116
	v_fmac_f64_e32 v[72:73], v[74:75], v[128:129]
	v_fma_f64 v[58:59], v[58:59], 2.0, -v[66:67]
	v_fma_f64 v[60:61], v[60:61], 2.0, -v[68:69]
	v_lshlrev_b32_e32 v0, 4, v0
	v_accvgpr_write_b32 a65, v117
	v_accvgpr_write_b32 a66, v118
	;; [unrolled: 1-line block ×3, first 2 shown]
	v_add_f64 v[116:117], v[62:63], -v[104:105]
	v_add_f64 v[118:119], v[64:65], -v[72:73]
	ds_write_b128 v0, v[58:61]
	v_accvgpr_write_b32 a86, v0
	ds_write_b128 v0, v[66:69] offset:544
	v_mad_legacy_u16 v0, v126, s14, v127
	v_accvgpr_write_b32 a76, v132
	v_accvgpr_write_b32 a72, v128
	v_fma_f64 v[62:63], v[62:63], 2.0, -v[116:117]
	v_fma_f64 v[64:65], v[64:65], 2.0, -v[118:119]
	v_lshlrev_b32_e32 v0, 4, v0
	v_accvgpr_write_b32 a77, v133
	v_accvgpr_write_b32 a78, v134
	;; [unrolled: 1-line block ×6, first 2 shown]
	ds_write_b128 v0, v[62:65]
	v_accvgpr_write_b32 a87, v0
	ds_write_b128 v0, v[116:119] offset:544
	s_waitcnt lgkmcnt(0)
	s_barrier
	ds_read_b128 v[132:135], v70
	ds_read_b128 v[128:131], v70 offset:1632
	ds_read_b128 v[152:155], v70 offset:17408
	;; [unrolled: 1-line block ×14, first 2 shown]
	v_accvgpr_write_b32 a80, v8
	s_and_saveexec_b64 s[2:3], s[0:1]
	s_cbranch_execz .LBB0_9
; %bb.8:
	ds_read_b128 v[116:119], v70 offset:8160
	ds_read_b128 v[112:115], v70 offset:16864
	;; [unrolled: 1-line block ×3, first 2 shown]
.LBB0_9:
	s_or_b64 exec, exec, s[2:3]
	s_movk_i32 s2, 0xffbc
	s_mov_b32 s3, -1
	v_lshl_add_u64 v[8:9], v[244:245], 0, s[2:3]
	v_cmp_gt_u16_e64 s[2:3], s14, v244
	v_lshrrev_b32_e32 v66, 22, v12
	v_mul_lo_u16_e32 v12, 0x44, v66
	v_cndmask_b32_e64 v9, v9, 0, s[2:3]
	v_cndmask_b32_e64 v8, v8, v244, s[2:3]
	v_lshlrev_b64 v[14:15], 5, v[8:9]
	v_lshrrev_b32_e32 v9, 22, v13
	v_mul_lo_u16_e32 v13, 0x44, v9
	v_lshl_add_u64 v[14:15], s[10:11], 0, v[14:15]
	v_sub_u16_e32 v64, v80, v13
	s_movk_i32 s2, 0x79
	global_load_dwordx4 v[24:27], v[14:15], off offset:832
	global_load_dwordx4 v[28:31], v[14:15], off offset:816
	v_lshlrev_b16_e32 v14, 5, v64
	v_mov_b32_e32 v15, 0
	v_mul_lo_u16_sdwa v13, v5, s2 dst_sel:DWORD dst_unused:UNUSED_PAD src0_sel:BYTE_0 src1_sel:DWORD
	v_lshl_add_u64 v[16:17], s[10:11], 0, v[14:15]
	v_lshrrev_b16_e32 v65, 13, v13
	global_load_dwordx4 v[44:47], v[16:17], off offset:816
	global_load_dwordx4 v[40:43], v[16:17], off offset:832
	v_mul_lo_u16_e32 v16, 0x44, v65
	v_sub_u16_e32 v67, v6, v12
	v_sub_u16_e32 v5, v5, v16
	v_lshlrev_b16_e32 v14, 5, v67
	v_and_b32_e32 v68, 0xff, v5
	v_lshl_add_u64 v[12:13], s[10:11], 0, v[14:15]
	v_lshlrev_b32_e32 v5, 5, v68
	global_load_dwordx4 v[48:51], v[12:13], off offset:832
	global_load_dwordx4 v[56:59], v[12:13], off offset:816
	global_load_dwordx4 v[78:81], v5, s[10:11] offset:816
	global_load_dwordx4 v[74:77], v5, s[10:11] offset:832
	v_lshrrev_b32_e32 v69, 22, v11
	v_mul_lo_u16_e32 v5, 0x44, v69
	v_sub_u16_e32 v71, v4, v5
	v_lshlrev_b16_e32 v14, 5, v71
	v_lshl_add_u64 v[4:5], s[10:11], 0, v[14:15]
	global_load_dwordx4 v[108:111], v[4:5], off offset:816
	global_load_dwordx4 v[82:85], v[4:5], off offset:832
	v_lshrrev_b32_e32 v4, 22, v10
	v_mul_lo_u16_e32 v4, 0x44, v4
	v_sub_u16_e32 v72, v7, v4
	v_lshlrev_b16_e32 v14, 5, v72
	v_lshl_add_u64 v[4:5], s[10:11], 0, v[14:15]
	global_load_dwordx4 v[100:103], v[4:5], off offset:816
	global_load_dwordx4 v[96:99], v[4:5], off offset:832
	s_mov_b32 s2, 0xe8584caa
	s_mov_b32 s3, 0x3febb67a
	;; [unrolled: 1-line block ×4, first 2 shown]
	s_waitcnt lgkmcnt(0)
	s_barrier
	v_lshlrev_b32_e32 v245, 4, v72
	s_waitcnt vmcnt(11)
	v_mul_f64 v[6:7], v[154:155], v[26:27]
	s_waitcnt vmcnt(10)
	v_mul_f64 v[4:5], v[170:171], v[30:31]
	v_mul_f64 v[16:17], v[168:169], v[30:31]
	v_mul_f64 v[18:19], v[152:153], v[26:27]
	v_fma_f64 v[20:21], v[168:169], v[28:29], -v[4:5]
	v_accvgpr_write_b32 a95, v31
	s_waitcnt vmcnt(9)
	v_mul_f64 v[10:11], v[162:163], v[46:47]
	s_waitcnt vmcnt(8)
	v_mul_f64 v[12:13], v[166:167], v[42:43]
	v_fma_f64 v[22:23], v[152:153], v[24:25], -v[6:7]
	v_fma_f64 v[38:39], v[164:165], v[40:41], -v[12:13]
	v_accvgpr_write_b32 a94, v30
	v_accvgpr_write_b32 a93, v29
	;; [unrolled: 1-line block ×3, first 2 shown]
	v_fmac_f64_e32 v[16:17], v[170:171], v[28:29]
	v_fmac_f64_e32 v[18:19], v[154:155], v[24:25]
	v_fma_f64 v[36:37], v[160:161], v[44:45], -v[10:11]
	s_waitcnt vmcnt(4)
	v_mul_f64 v[12:13], v[2:3], v[76:77]
	v_mul_f64 v[10:11], v[62:63], v[80:81]
	v_fma_f64 v[30:31], v[0:1], v[74:75], -v[12:13]
	v_add_f64 v[12:13], v[20:21], v[22:23]
	v_accvgpr_write_b32 a91, v27
	v_fma_f64 v[28:29], v[60:61], v[78:79], -v[10:11]
	v_add_f64 v[10:11], v[132:133], v[20:21]
	v_fmac_f64_e32 v[132:133], -0.5, v[12:13]
	v_add_f64 v[12:13], v[16:17], -v[18:19]
	v_accvgpr_write_b32 a90, v26
	v_accvgpr_write_b32 a89, v25
	v_accvgpr_write_b32 a88, v24
	v_mul_f64 v[24:25], v[60:61], v[80:81]
	v_mul_f64 v[26:27], v[0:1], v[76:77]
	v_fma_f64 v[14:15], s[2:3], v[12:13], v[132:133]
	v_fmac_f64_e32 v[132:133], s[14:15], v[12:13]
	v_add_f64 v[12:13], v[134:135], v[16:17]
	v_add_f64 v[16:17], v[16:17], v[18:19]
	v_fmac_f64_e32 v[24:25], v[62:63], v[78:79]
	v_fmac_f64_e32 v[26:27], v[2:3], v[74:75]
	v_add_f64 v[12:13], v[12:13], v[18:19]
	v_fmac_f64_e32 v[134:135], -0.5, v[16:17]
	v_add_f64 v[18:19], v[20:21], -v[22:23]
	v_add_f64 v[20:21], v[28:29], v[30:31]
	v_fma_f64 v[16:17], s[14:15], v[18:19], v[134:135]
	v_fmac_f64_e32 v[134:135], s[2:3], v[18:19]
	v_add_f64 v[18:19], v[128:129], v[28:29]
	v_fmac_f64_e32 v[128:129], -0.5, v[20:21]
	v_add_f64 v[20:21], v[24:25], -v[26:27]
	v_mul_f64 v[32:33], v[160:161], v[46:47]
	v_mul_f64 v[34:35], v[164:165], v[42:43]
	v_add_f64 v[10:11], v[10:11], v[22:23]
	v_fma_f64 v[22:23], s[2:3], v[20:21], v[128:129]
	v_fmac_f64_e32 v[128:129], s[14:15], v[20:21]
	v_add_f64 v[20:21], v[130:131], v[24:25]
	v_add_f64 v[24:25], v[24:25], v[26:27]
	v_fmac_f64_e32 v[32:33], v[162:163], v[44:45]
	v_fmac_f64_e32 v[34:35], v[166:167], v[40:41]
	v_add_f64 v[20:21], v[20:21], v[26:27]
	v_fmac_f64_e32 v[130:131], -0.5, v[24:25]
	v_add_f64 v[26:27], v[28:29], -v[30:31]
	v_add_f64 v[28:29], v[36:37], v[38:39]
	v_accvgpr_write_b32 a103, v47
	v_accvgpr_write_b32 a99, v43
	v_mul_f64 v[4:5], v[158:159], v[58:59]
	v_mul_f64 v[6:7], v[146:147], v[50:51]
	v_fma_f64 v[24:25], s[14:15], v[26:27], v[130:131]
	v_fmac_f64_e32 v[130:131], s[2:3], v[26:27]
	v_add_f64 v[26:27], v[124:125], v[36:37]
	v_fmac_f64_e32 v[124:125], -0.5, v[28:29]
	v_add_f64 v[28:29], v[32:33], -v[34:35]
	v_accvgpr_write_b32 a102, v46
	v_accvgpr_write_b32 a101, v45
	;; [unrolled: 1-line block ×6, first 2 shown]
	v_mul_f64 v[40:41], v[156:157], v[58:59]
	v_mul_f64 v[42:43], v[144:145], v[50:51]
	v_fma_f64 v[44:45], v[156:157], v[56:57], -v[4:5]
	v_fma_f64 v[46:47], v[144:145], v[48:49], -v[6:7]
	v_add_f64 v[18:19], v[18:19], v[30:31]
	v_fma_f64 v[30:31], s[2:3], v[28:29], v[124:125]
	v_fmac_f64_e32 v[124:125], s[14:15], v[28:29]
	v_add_f64 v[28:29], v[126:127], v[32:33]
	v_add_f64 v[32:33], v[32:33], v[34:35]
	v_fmac_f64_e32 v[40:41], v[158:159], v[56:57]
	v_fmac_f64_e32 v[42:43], v[146:147], v[48:49]
	v_add_f64 v[28:29], v[28:29], v[34:35]
	v_fmac_f64_e32 v[126:127], -0.5, v[32:33]
	v_add_f64 v[34:35], v[36:37], -v[38:39]
	v_add_f64 v[36:37], v[44:45], v[46:47]
	v_accvgpr_write_b32 a111, v59
	v_accvgpr_write_b32 a107, v51
	s_waitcnt vmcnt(3)
	v_mul_f64 v[4:5], v[142:143], v[110:111]
	s_waitcnt vmcnt(2)
	v_mul_f64 v[6:7], v[138:139], v[84:85]
	v_fma_f64 v[32:33], s[14:15], v[34:35], v[126:127]
	v_fmac_f64_e32 v[126:127], s[2:3], v[34:35]
	v_add_f64 v[34:35], v[52:53], v[44:45]
	v_fmac_f64_e32 v[52:53], -0.5, v[36:37]
	v_add_f64 v[36:37], v[40:41], -v[42:43]
	v_accvgpr_write_b32 a110, v58
	v_accvgpr_write_b32 a109, v57
	;; [unrolled: 1-line block ×6, first 2 shown]
	v_mul_f64 v[48:49], v[140:141], v[110:111]
	v_mul_f64 v[50:51], v[136:137], v[84:85]
	v_fma_f64 v[56:57], v[140:141], v[108:109], -v[4:5]
	v_fma_f64 v[58:59], v[136:137], v[82:83], -v[6:7]
	v_add_f64 v[26:27], v[26:27], v[38:39]
	v_fma_f64 v[38:39], s[2:3], v[36:37], v[52:53]
	v_fmac_f64_e32 v[52:53], s[14:15], v[36:37]
	v_add_f64 v[36:37], v[54:55], v[40:41]
	v_add_f64 v[40:41], v[40:41], v[42:43]
	v_fmac_f64_e32 v[48:49], v[142:143], v[108:109]
	v_fmac_f64_e32 v[50:51], v[138:139], v[82:83]
	v_add_f64 v[36:37], v[36:37], v[42:43]
	v_fmac_f64_e32 v[54:55], -0.5, v[40:41]
	v_add_f64 v[42:43], v[44:45], -v[46:47]
	v_add_f64 v[44:45], v[56:57], v[58:59]
	v_fma_f64 v[40:41], s[14:15], v[42:43], v[54:55]
	v_fmac_f64_e32 v[54:55], s[2:3], v[42:43]
	v_add_f64 v[42:43], v[120:121], v[56:57]
	v_fmac_f64_e32 v[120:121], -0.5, v[44:45]
	v_add_f64 v[44:45], v[48:49], -v[50:51]
	s_waitcnt vmcnt(1)
	v_mul_f64 v[0:1], v[114:115], v[102:103]
	s_waitcnt vmcnt(0)
	v_mul_f64 v[2:3], v[150:151], v[98:99]
	v_add_f64 v[34:35], v[34:35], v[46:47]
	v_fma_f64 v[46:47], s[2:3], v[44:45], v[120:121]
	v_fmac_f64_e32 v[120:121], s[14:15], v[44:45]
	v_add_f64 v[44:45], v[122:123], v[48:49]
	v_add_f64 v[48:49], v[48:49], v[50:51]
	v_fma_f64 v[0:1], v[112:113], v[100:101], -v[0:1]
	v_mul_f64 v[4:5], v[112:113], v[102:103]
	v_fma_f64 v[2:3], v[148:149], v[96:97], -v[2:3]
	v_mul_f64 v[6:7], v[148:149], v[98:99]
	v_add_f64 v[44:45], v[44:45], v[50:51]
	v_fmac_f64_e32 v[122:123], -0.5, v[48:49]
	v_add_f64 v[50:51], v[56:57], -v[58:59]
	v_fmac_f64_e32 v[4:5], v[114:115], v[100:101]
	v_fmac_f64_e32 v[6:7], v[150:151], v[96:97]
	v_fma_f64 v[48:49], s[14:15], v[50:51], v[122:123]
	v_fmac_f64_e32 v[122:123], s[2:3], v[50:51]
	v_add_f64 v[50:51], v[0:1], v[2:3]
	v_fma_f64 v[112:113], -0.5, v[50:51], v[116:117]
	v_add_f64 v[50:51], v[4:5], -v[6:7]
	v_fma_f64 v[172:173], s[2:3], v[50:51], v[112:113]
	v_fmac_f64_e32 v[112:113], s[14:15], v[50:51]
	v_add_f64 v[50:51], v[4:5], v[6:7]
	v_fma_f64 v[114:115], -0.5, v[50:51], v[118:119]
	v_add_f64 v[50:51], v[0:1], -v[2:3]
	v_fma_f64 v[174:175], s[14:15], v[50:51], v[114:115]
	v_fmac_f64_e32 v[114:115], s[2:3], v[50:51]
	s_movk_i32 s2, 0x43
	v_mov_b32_e32 v50, 0xcc
	v_cmp_lt_u16_e64 s[2:3], s2, v244
	s_movk_i32 s14, 0xcc
	v_accvgpr_write_b32 a119, v81
	v_cndmask_b32_e64 v50, 0, v50, s[2:3]
	v_add_lshl_u32 v8, v8, v50, 4
	ds_write_b128 v8, v[10:13]
	ds_write_b128 v8, v[14:17] offset:1088
	v_accvgpr_write_b32 a125, v8
	ds_write_b128 v8, v[132:135] offset:2176
	v_mul_u32_u24_e32 v8, 0xcc, v65
	v_add_lshl_u32 v8, v8, v68, 4
	ds_write_b128 v8, v[18:21]
	ds_write_b128 v8, v[22:25] offset:1088
	v_accvgpr_write_b32 a126, v8
	ds_write_b128 v8, v[128:131] offset:2176
	v_mad_legacy_u16 v8, v9, s14, v64
	v_lshlrev_b32_e32 v8, 4, v8
	ds_write_b128 v8, v[26:29]
	ds_write_b128 v8, v[30:33] offset:1088
	v_accvgpr_write_b32 a127, v8
	ds_write_b128 v8, v[124:127] offset:2176
	v_mad_legacy_u16 v8, v66, s14, v67
	v_lshlrev_b32_e32 v8, 4, v8
	v_accvgpr_write_b32 a115, v77
	v_accvgpr_write_b32 a123, v85
	ds_write_b128 v8, v[34:37]
	ds_write_b128 v8, v[38:41] offset:1088
	v_accvgpr_write_b32 a128, v8
	ds_write_b128 v8, v[52:55] offset:2176
	v_mad_legacy_u16 v8, v69, s14, v71
	v_accvgpr_write_b32 a118, v80
	v_accvgpr_write_b32 a117, v79
	;; [unrolled: 1-line block ×9, first 2 shown]
	v_add_f64 v[42:43], v[42:43], v[58:59]
	v_lshlrev_b32_e32 v71, 4, v8
	ds_write_b128 v71, v[42:45]
	ds_write_b128 v71, v[46:49] offset:1088
	ds_write_b128 v71, v[120:123] offset:2176
	s_and_saveexec_b64 s[2:3], s[0:1]
	s_cbranch_execz .LBB0_11
; %bb.10:
	v_add_f64 v[4:5], v[118:119], v[4:5]
	v_add_f64 v[0:1], v[116:117], v[0:1]
	;; [unrolled: 1-line block ×4, first 2 shown]
	ds_write_b128 v245, v[2:5] offset:22848
	ds_write_b128 v245, v[172:175] offset:23936
	;; [unrolled: 1-line block ×3, first 2 shown]
.LBB0_11:
	s_or_b64 exec, exec, s[2:3]
	s_movk_i32 s2, 0x70
	v_mov_b64_e32 v[4:5], s[10:11]
	v_mad_u64_u32 v[26:27], s[2:3], v244, s2, v[4:5]
	s_waitcnt lgkmcnt(0)
	s_barrier
	ds_read_b128 v[176:179], v70
	ds_read_b128 v[6:9], v70 offset:3264
	ds_read_b128 v[14:17], v70 offset:6528
	;; [unrolled: 1-line block ×15, first 2 shown]
	global_load_dwordx4 v[116:119], v[26:27], off offset:3040
	global_load_dwordx4 v[120:123], v[26:27], off offset:3024
	;; [unrolled: 1-line block ×7, first 2 shown]
	s_mov_b64 s[2:3], 0x2ca0
	v_lshl_add_u64 v[46:47], v[26:27], 0, s[2:3]
	s_mov_b32 s2, 0x667f3bcd
	s_mov_b32 s3, 0xbfe6a09e
	;; [unrolled: 1-line block ×4, first 2 shown]
	s_waitcnt vmcnt(5) lgkmcnt(12)
	v_mul_f64 v[10:11], v[18:19], v[122:123]
	v_fmac_f64_e32 v[10:11], v[20:21], v[120:121]
	s_waitcnt vmcnt(3)
	v_mul_f64 v[4:5], v[8:9], v[138:139]
	v_fma_f64 v[4:5], v[6:7], v[136:137], -v[4:5]
	v_mul_f64 v[6:7], v[6:7], v[138:139]
	v_fmac_f64_e32 v[6:7], v[8:9], v[136:137]
	v_mul_f64 v[8:9], v[16:17], v[126:127]
	v_fma_f64 v[12:13], v[14:15], v[124:125], -v[8:9]
	v_mul_f64 v[8:9], v[20:21], v[122:123]
	v_mul_f64 v[14:15], v[14:15], v[126:127]
	v_fma_f64 v[8:9], v[18:19], v[120:121], -v[8:9]
	s_waitcnt lgkmcnt(11)
	v_mul_f64 v[18:19], v[22:23], v[118:119]
	v_fmac_f64_e32 v[14:15], v[16:17], v[124:125]
	v_mul_f64 v[16:17], v[24:25], v[118:119]
	v_fmac_f64_e32 v[18:19], v[24:25], v[116:117]
	s_waitcnt vmcnt(1) lgkmcnt(9)
	v_mul_f64 v[24:25], v[150:151], v[134:135]
	v_fma_f64 v[16:17], v[22:23], v[116:117], -v[16:17]
	s_waitcnt vmcnt(0)
	v_mul_f64 v[20:21], v[154:155], v[142:143]
	v_mul_f64 v[22:23], v[152:153], v[142:143]
	v_fma_f64 v[36:37], v[148:149], v[132:133], -v[24:25]
	v_mul_f64 v[38:39], v[148:149], v[134:135]
	s_waitcnt lgkmcnt(8)
	v_mul_f64 v[24:25], v[146:147], v[130:131]
	v_mul_f64 v[30:31], v[144:145], v[130:131]
	v_fma_f64 v[20:21], v[152:153], v[140:141], -v[20:21]
	v_fmac_f64_e32 v[22:23], v[154:155], v[140:141]
	v_fmac_f64_e32 v[38:39], v[150:151], v[132:133]
	v_fma_f64 v[28:29], v[144:145], v[128:129], -v[24:25]
	v_fmac_f64_e32 v[30:31], v[146:147], v[128:129]
	global_load_dwordx4 v[144:147], v[46:47], off offset:3040
	global_load_dwordx4 v[148:151], v[46:47], off offset:3024
	;; [unrolled: 1-line block ×4, first 2 shown]
	v_add_f64 v[18:19], v[178:179], -v[18:19]
	v_add_f64 v[36:37], v[12:13], -v[36:37]
	;; [unrolled: 1-line block ×4, first 2 shown]
	v_fma_f64 v[12:13], v[12:13], 2.0, -v[36:37]
	v_add_f64 v[20:21], v[4:5], -v[20:21]
	v_add_f64 v[30:31], v[10:11], -v[30:31]
	v_fma_f64 v[8:9], v[8:9], 2.0, -v[28:29]
	v_add_f64 v[36:37], v[18:19], v[36:37]
	v_add_f64 v[28:29], v[22:23], v[28:29]
	v_add_f64 v[16:17], v[176:177], -v[16:17]
	v_fma_f64 v[58:59], v[178:179], 2.0, -v[18:19]
	v_add_f64 v[38:39], v[14:15], -v[38:39]
	v_fma_f64 v[6:7], v[6:7], 2.0, -v[22:23]
	v_fma_f64 v[10:11], v[10:11], 2.0, -v[30:31]
	;; [unrolled: 1-line block ×3, first 2 shown]
	v_add_f64 v[30:31], v[20:21], -v[30:31]
	v_fma_f64 v[22:23], v[22:23], 2.0, -v[28:29]
	v_fma_f64 v[56:57], v[176:177], 2.0, -v[16:17]
	;; [unrolled: 1-line block ×4, first 2 shown]
	v_add_f64 v[38:39], v[16:17], -v[38:39]
	v_fma_f64 v[20:21], v[20:21], 2.0, -v[30:31]
	v_fma_f64 v[194:195], s[2:3], v[22:23], v[18:19]
	v_add_f64 v[12:13], v[56:57], -v[12:13]
	v_fma_f64 v[16:17], v[16:17], 2.0, -v[38:39]
	v_add_f64 v[8:9], v[4:5], -v[8:9]
	v_add_f64 v[10:11], v[6:7], -v[10:11]
	v_fmac_f64_e32 v[194:195], s[10:11], v[20:21]
	v_add_f64 v[14:15], v[58:59], -v[14:15]
	v_fma_f64 v[56:57], v[56:57], 2.0, -v[12:13]
	v_fma_f64 v[4:5], v[4:5], 2.0, -v[8:9]
	v_fma_f64 v[192:193], s[2:3], v[20:21], v[16:17]
	v_add_f64 v[200:201], v[12:13], -v[10:11]
	v_fma_f64 v[58:59], v[58:59], 2.0, -v[14:15]
	v_fma_f64 v[6:7], v[6:7], 2.0, -v[10:11]
	v_fmac_f64_e32 v[192:193], s[2:3], v[22:23]
	v_add_f64 v[202:203], v[14:15], v[8:9]
	v_fma_f64 v[204:205], s[10:11], v[30:31], v[38:39]
	v_fma_f64 v[206:207], s[10:11], v[28:29], v[36:37]
	v_fmac_f64_e32 v[204:205], s[2:3], v[28:29]
	v_fmac_f64_e32 v[206:207], s[10:11], v[30:31]
	v_fma_f64 v[196:197], v[38:39], 2.0, -v[204:205]
	v_fma_f64 v[198:199], v[36:37], 2.0, -v[206:207]
	s_waitcnt vmcnt(3) lgkmcnt(3)
	v_mul_f64 v[44:45], v[2:3], v[146:147]
	v_fma_f64 v[44:45], v[0:1], v[144:145], -v[44:45]
	s_waitcnt vmcnt(1)
	v_mul_f64 v[32:33], v[62:63], v[154:155]
	s_waitcnt vmcnt(0)
	v_mul_f64 v[24:25], v[158:159], v[166:167]
	v_mul_f64 v[26:27], v[156:157], v[166:167]
	v_fma_f64 v[24:25], v[156:157], v[164:165], -v[24:25]
	v_fmac_f64_e32 v[26:27], v[158:159], v[164:165]
	global_load_dwordx4 v[156:159], v[46:47], off offset:3088
	global_load_dwordx4 v[160:163], v[46:47], off offset:3072
	;; [unrolled: 1-line block ×3, first 2 shown]
	v_mul_f64 v[0:1], v[0:1], v[146:147]
	v_fma_f64 v[40:41], v[60:61], v[152:153], -v[32:33]
	v_mul_f64 v[32:33], v[54:55], v[150:151]
	v_mul_f64 v[34:35], v[52:53], v[150:151]
	v_fmac_f64_e32 v[0:1], v[2:3], v[144:145]
	v_mul_f64 v[42:43], v[60:61], v[154:155]
	v_fma_f64 v[32:33], v[52:53], v[148:149], -v[32:33]
	v_fmac_f64_e32 v[34:35], v[54:55], v[148:149]
	v_fmac_f64_e32 v[42:43], v[62:63], v[152:153]
	v_add_f64 v[0:1], v[210:211], -v[0:1]
	v_fma_f64 v[8:9], v[210:211], 2.0, -v[0:1]
	s_waitcnt vmcnt(2) lgkmcnt(0)
	v_mul_f64 v[52:53], v[182:183], v[158:159]
	s_waitcnt vmcnt(1)
	v_mul_f64 v[48:49], v[186:187], v[162:163]
	s_waitcnt vmcnt(0)
	v_mul_f64 v[2:3], v[190:191], v[170:171]
	v_mul_f64 v[46:47], v[188:189], v[170:171]
	v_fma_f64 v[2:3], v[188:189], v[168:169], -v[2:3]
	v_fmac_f64_e32 v[46:47], v[190:191], v[168:169]
	v_mul_f64 v[50:51], v[184:185], v[162:163]
	v_mul_f64 v[54:55], v[180:181], v[158:159]
	v_fma_f64 v[48:49], v[184:185], v[160:161], -v[48:49]
	v_fmac_f64_e32 v[50:51], v[186:187], v[160:161]
	v_fma_f64 v[52:53], v[180:181], v[156:157], -v[52:53]
	v_fmac_f64_e32 v[54:55], v[182:183], v[156:157]
	v_fma_f64 v[186:187], v[18:19], 2.0, -v[194:195]
	v_add_f64 v[2:3], v[24:25], -v[2:3]
	v_add_f64 v[18:19], v[26:27], -v[46:47]
	;; [unrolled: 1-line block ×3, first 2 shown]
	v_fma_f64 v[188:189], v[12:13], 2.0, -v[200:201]
	v_add_f64 v[4:5], v[208:209], -v[44:45]
	v_add_f64 v[10:11], v[40:41], -v[48:49]
	v_add_f64 v[12:13], v[42:43], -v[50:51]
	v_fma_f64 v[20:21], v[24:25], 2.0, -v[2:3]
	v_fma_f64 v[22:23], v[26:27], 2.0, -v[18:19]
	v_add_f64 v[24:25], v[32:33], -v[52:53]
	v_add_f64 v[26:27], v[34:35], -v[54:55]
	;; [unrolled: 1-line block ×3, first 2 shown]
	v_fma_f64 v[184:185], v[16:17], 2.0, -v[192:193]
	v_fma_f64 v[190:191], v[14:15], 2.0, -v[202:203]
	;; [unrolled: 1-line block ×7, first 2 shown]
	v_add_f64 v[12:13], v[4:5], -v[12:13]
	v_add_f64 v[10:11], v[0:1], v[10:11]
	v_add_f64 v[26:27], v[2:3], -v[26:27]
	v_add_f64 v[24:25], v[18:19], v[24:25]
	v_add_f64 v[14:15], v[6:7], -v[14:15]
	v_add_f64 v[16:17], v[8:9], -v[16:17]
	v_fma_f64 v[4:5], v[4:5], 2.0, -v[12:13]
	v_fma_f64 v[0:1], v[0:1], 2.0, -v[10:11]
	v_add_f64 v[28:29], v[20:21], -v[28:29]
	v_add_f64 v[30:31], v[22:23], -v[30:31]
	v_fma_f64 v[2:3], v[2:3], 2.0, -v[26:27]
	v_fma_f64 v[18:19], v[18:19], 2.0, -v[24:25]
	;; [unrolled: 1-line block ×6, first 2 shown]
	v_fma_f64 v[224:225], s[2:3], v[2:3], v[4:5]
	v_fma_f64 v[226:227], s[2:3], v[18:19], v[0:1]
	v_fma_f64 v[236:237], s[10:11], v[26:27], v[12:13]
	v_fma_f64 v[238:239], s[10:11], v[24:25], v[10:11]
	v_add_f64 v[216:217], v[6:7], -v[20:21]
	v_add_f64 v[218:219], v[8:9], -v[22:23]
	v_fmac_f64_e32 v[224:225], s[2:3], v[18:19]
	v_fmac_f64_e32 v[226:227], s[10:11], v[2:3]
	v_add_f64 v[232:233], v[14:15], -v[30:31]
	v_add_f64 v[234:235], v[16:17], v[28:29]
	v_fmac_f64_e32 v[236:237], s[2:3], v[24:25]
	v_fmac_f64_e32 v[238:239], s[10:11], v[26:27]
	v_fma_f64 v[176:177], v[56:57], 2.0, -v[180:181]
	v_fma_f64 v[178:179], v[58:59], 2.0, -v[182:183]
	;; [unrolled: 1-line block ×10, first 2 shown]
	ds_write_b128 v70, v[176:179]
	ds_write_b128 v70, v[184:187] offset:3264
	ds_write_b128 v70, v[188:191] offset:6528
	;; [unrolled: 1-line block ×15, first 2 shown]
	s_waitcnt lgkmcnt(0)
	s_barrier
	s_and_saveexec_b64 s[10:11], vcc
	s_cbranch_execz .LBB0_13
; %bb.12:
	s_add_u32 s14, s8, 0x6600
	s_addc_u32 s15, s9, 0
	global_load_dwordx4 v[6:9], v252, s[14:15]
	ds_read_b128 v[2:5], v70
	v_mov_b32_e32 v253, 0
	v_lshl_add_u64 v[0:1], s[14:15], 0, v[252:253]
	s_movk_i32 s2, 0x1000
	v_add_co_u32_e64 v14, s[2:3], s2, v0
	s_waitcnt vmcnt(0) lgkmcnt(0)
	v_mul_f64 v[10:11], v[4:5], v[8:9]
	v_mul_f64 v[12:13], v[2:3], v[8:9]
	v_fma_f64 v[10:11], v[2:3], v[6:7], -v[10:11]
	v_fmac_f64_e32 v[12:13], v[4:5], v[6:7]
	ds_write_b128 v70, v[10:13]
	ds_read_b128 v[2:5], v252 offset:1536
	global_load_dwordx4 v[6:9], v252, s[14:15] offset:1536
	v_addc_co_u32_e64 v15, s[2:3], 0, v1, s[2:3]
	s_movk_i32 s2, 0x2000
	s_waitcnt vmcnt(0) lgkmcnt(0)
	v_mul_f64 v[10:11], v[4:5], v[8:9]
	v_mul_f64 v[12:13], v[2:3], v[8:9]
	v_fma_f64 v[10:11], v[2:3], v[6:7], -v[10:11]
	v_fmac_f64_e32 v[12:13], v[4:5], v[6:7]
	ds_read_b128 v[2:5], v252 offset:3072
	global_load_dwordx4 v[6:9], v252, s[14:15] offset:3072
	ds_write_b128 v252, v[10:13] offset:1536
	s_waitcnt vmcnt(0) lgkmcnt(1)
	v_mul_f64 v[10:11], v[4:5], v[8:9]
	v_mul_f64 v[12:13], v[2:3], v[8:9]
	v_fma_f64 v[10:11], v[2:3], v[6:7], -v[10:11]
	v_fmac_f64_e32 v[12:13], v[4:5], v[6:7]
	global_load_dwordx4 v[6:9], v[14:15], off offset:512
	ds_read_b128 v[2:5], v252 offset:4608
	ds_write_b128 v252, v[10:13] offset:3072
	s_waitcnt vmcnt(0) lgkmcnt(1)
	v_mul_f64 v[10:11], v[4:5], v[8:9]
	v_mul_f64 v[12:13], v[2:3], v[8:9]
	v_fma_f64 v[10:11], v[2:3], v[6:7], -v[10:11]
	v_fmac_f64_e32 v[12:13], v[4:5], v[6:7]
	v_or_b32_e32 v6, 0x1800, v252
	global_load_dwordx4 v[6:9], v6, s[14:15]
	ds_read_b128 v[2:5], v252 offset:6144
	ds_write_b128 v252, v[10:13] offset:4608
	s_waitcnt vmcnt(0) lgkmcnt(1)
	v_mul_f64 v[10:11], v[4:5], v[8:9]
	v_mul_f64 v[12:13], v[2:3], v[8:9]
	v_fma_f64 v[10:11], v[2:3], v[6:7], -v[10:11]
	v_fmac_f64_e32 v[12:13], v[4:5], v[6:7]
	global_load_dwordx4 v[6:9], v[14:15], off offset:3584
	ds_read_b128 v[2:5], v252 offset:7680
	v_add_co_u32_e64 v14, s[2:3], s2, v0
	ds_write_b128 v252, v[10:13] offset:6144
	s_nop 0
	v_addc_co_u32_e64 v15, s[2:3], 0, v1, s[2:3]
	s_movk_i32 s2, 0x3000
	s_waitcnt vmcnt(0) lgkmcnt(1)
	v_mul_f64 v[10:11], v[4:5], v[8:9]
	v_mul_f64 v[12:13], v[2:3], v[8:9]
	v_fma_f64 v[10:11], v[2:3], v[6:7], -v[10:11]
	v_fmac_f64_e32 v[12:13], v[4:5], v[6:7]
	global_load_dwordx4 v[6:9], v[14:15], off offset:1024
	ds_read_b128 v[2:5], v252 offset:9216
	ds_write_b128 v252, v[10:13] offset:7680
	s_waitcnt vmcnt(0) lgkmcnt(1)
	v_mul_f64 v[10:11], v[4:5], v[8:9]
	v_mul_f64 v[12:13], v[2:3], v[8:9]
	v_fma_f64 v[10:11], v[2:3], v[6:7], -v[10:11]
	v_fmac_f64_e32 v[12:13], v[4:5], v[6:7]
	global_load_dwordx4 v[6:9], v[14:15], off offset:2560
	ds_read_b128 v[2:5], v252 offset:10752
	ds_write_b128 v252, v[10:13] offset:9216
	v_add_co_u32_e64 v14, s[2:3], s2, v0
	s_waitcnt vmcnt(0) lgkmcnt(1)
	v_mul_f64 v[10:11], v[4:5], v[8:9]
	v_mul_f64 v[12:13], v[2:3], v[8:9]
	v_fma_f64 v[10:11], v[2:3], v[6:7], -v[10:11]
	v_fmac_f64_e32 v[12:13], v[4:5], v[6:7]
	v_or_b32_e32 v6, 0x3000, v252
	global_load_dwordx4 v[6:9], v6, s[14:15]
	ds_read_b128 v[2:5], v252 offset:12288
	ds_write_b128 v252, v[10:13] offset:10752
	v_addc_co_u32_e64 v15, s[2:3], 0, v1, s[2:3]
	s_movk_i32 s2, 0x4000
	s_waitcnt vmcnt(0) lgkmcnt(1)
	v_mul_f64 v[10:11], v[4:5], v[8:9]
	v_mul_f64 v[12:13], v[2:3], v[8:9]
	v_fma_f64 v[10:11], v[2:3], v[6:7], -v[10:11]
	v_fmac_f64_e32 v[12:13], v[4:5], v[6:7]
	global_load_dwordx4 v[6:9], v[14:15], off offset:1536
	ds_read_b128 v[2:5], v252 offset:13824
	ds_write_b128 v252, v[10:13] offset:12288
	s_waitcnt vmcnt(0) lgkmcnt(1)
	v_mul_f64 v[10:11], v[4:5], v[8:9]
	v_mul_f64 v[12:13], v[2:3], v[8:9]
	v_fma_f64 v[10:11], v[2:3], v[6:7], -v[10:11]
	v_fmac_f64_e32 v[12:13], v[4:5], v[6:7]
	global_load_dwordx4 v[6:9], v[14:15], off offset:3072
	ds_read_b128 v[2:5], v252 offset:15360
	v_add_co_u32_e64 v14, s[2:3], s2, v0
	ds_write_b128 v252, v[10:13] offset:13824
	s_nop 0
	v_addc_co_u32_e64 v15, s[2:3], 0, v1, s[2:3]
	s_movk_i32 s2, 0x5000
	s_waitcnt vmcnt(0) lgkmcnt(1)
	v_mul_f64 v[10:11], v[4:5], v[8:9]
	v_mul_f64 v[12:13], v[2:3], v[8:9]
	v_fma_f64 v[10:11], v[2:3], v[6:7], -v[10:11]
	v_fmac_f64_e32 v[12:13], v[4:5], v[6:7]
	global_load_dwordx4 v[6:9], v[14:15], off offset:512
	ds_read_b128 v[2:5], v252 offset:16896
	ds_write_b128 v252, v[10:13] offset:15360
	s_waitcnt vmcnt(0) lgkmcnt(1)
	v_mul_f64 v[10:11], v[4:5], v[8:9]
	v_mul_f64 v[12:13], v[2:3], v[8:9]
	v_fma_f64 v[10:11], v[2:3], v[6:7], -v[10:11]
	v_fmac_f64_e32 v[12:13], v[4:5], v[6:7]
	v_or_b32_e32 v6, 0x4800, v252
	global_load_dwordx4 v[6:9], v6, s[14:15]
	ds_read_b128 v[2:5], v252 offset:18432
	ds_write_b128 v252, v[10:13] offset:16896
	s_waitcnt vmcnt(0) lgkmcnt(1)
	v_mul_f64 v[10:11], v[4:5], v[8:9]
	v_mul_f64 v[12:13], v[2:3], v[8:9]
	v_fma_f64 v[10:11], v[2:3], v[6:7], -v[10:11]
	v_fmac_f64_e32 v[12:13], v[4:5], v[6:7]
	global_load_dwordx4 v[6:9], v[14:15], off offset:3584
	ds_read_b128 v[2:5], v252 offset:19968
	ds_write_b128 v252, v[10:13] offset:18432
	s_waitcnt vmcnt(0) lgkmcnt(1)
	v_mul_f64 v[10:11], v[4:5], v[8:9]
	v_mul_f64 v[12:13], v[2:3], v[8:9]
	v_fma_f64 v[10:11], v[2:3], v[6:7], -v[10:11]
	v_fmac_f64_e32 v[12:13], v[4:5], v[6:7]
	ds_write_b128 v252, v[10:13] offset:19968
	v_add_co_u32_e64 v10, s[2:3], s2, v0
	ds_read_b128 v[2:5], v252 offset:21504
	s_nop 0
	v_addc_co_u32_e64 v11, s[2:3], 0, v1, s[2:3]
	global_load_dwordx4 v[6:9], v[10:11], off offset:1024
	s_waitcnt vmcnt(0) lgkmcnt(0)
	v_mul_f64 v[0:1], v[4:5], v[8:9]
	v_fma_f64 v[0:1], v[2:3], v[6:7], -v[0:1]
	v_mul_f64 v[2:3], v[2:3], v[8:9]
	v_fmac_f64_e32 v[2:3], v[4:5], v[6:7]
	global_load_dwordx4 v[4:7], v[10:11], off offset:2560
	ds_write_b128 v252, v[0:3] offset:21504
	ds_read_b128 v[0:3], v252 offset:23040
	s_waitcnt vmcnt(0) lgkmcnt(0)
	v_mul_f64 v[8:9], v[2:3], v[6:7]
	v_mul_f64 v[10:11], v[0:1], v[6:7]
	v_fma_f64 v[8:9], v[0:1], v[4:5], -v[8:9]
	v_fmac_f64_e32 v[10:11], v[2:3], v[4:5]
	v_or_b32_e32 v4, 0x6000, v252
	global_load_dwordx4 v[52:55], v4, s[14:15]
	ds_read_b128 v[0:3], v252 offset:24576
	ds_write_b128 v252, v[8:11] offset:23040
	s_waitcnt vmcnt(0) lgkmcnt(1)
	v_mul_f64 v[4:5], v[2:3], v[54:55]
	v_mul_f64 v[6:7], v[0:1], v[54:55]
	v_fma_f64 v[4:5], v[0:1], v[52:53], -v[4:5]
	v_fmac_f64_e32 v[6:7], v[2:3], v[52:53]
	ds_write_b128 v252, v[4:7] offset:24576
.LBB0_13:
	s_or_b64 exec, exec, s[10:11]
	s_waitcnt lgkmcnt(0)
	s_barrier
	s_and_saveexec_b64 s[2:3], vcc
	s_cbranch_execz .LBB0_15
; %bb.14:
	ds_read_b128 v[176:179], v70
	ds_read_b128 v[184:187], v70 offset:1536
	ds_read_b128 v[188:191], v70 offset:3072
	;; [unrolled: 1-line block ×16, first 2 shown]
.LBB0_15:
	s_or_b64 exec, exec, s[2:3]
	s_mov_b32 s42, 0x5d8e7cdc
	s_waitcnt lgkmcnt(0)
	v_add_f64 v[16:17], v[186:187], -v[174:175]
	s_mov_b32 s10, 0x370991
	s_mov_b32 s43, 0xbfd71e95
	;; [unrolled: 1-line block ×3, first 2 shown]
	v_add_f64 v[254:255], v[172:173], v[184:185]
	v_add_f64 v[54:55], v[174:175], v[186:187]
	s_mov_b32 s11, 0x3fedd6d0
	v_mul_f64 v[62:63], v[16:17], s[42:43]
	v_add_f64 v[26:27], v[190:191], -v[238:239]
	s_mov_b32 s14, 0x75d4884
	s_mov_b32 s21, 0xbfe58eea
	v_add_f64 v[28:29], v[184:185], -v[172:173]
	v_mul_f64 v[72:73], v[54:55], s[10:11]
	v_fma_f64 v[0:1], v[254:255], s[10:11], -v[62:63]
	v_add_f64 v[52:53], v[188:189], v[236:237]
	v_add_f64 v[10:11], v[190:191], v[238:239]
	s_mov_b32 s15, 0x3fe7a5f6
	v_mul_f64 v[74:75], v[26:27], s[20:21]
	s_mov_b32 s24, 0x7c9e640b
	v_add_f64 v[0:1], v[176:177], v[0:1]
	v_fma_f64 v[2:3], s[42:43], v[28:29], v[72:73]
	v_add_f64 v[18:19], v[188:189], -v[236:237]
	v_mul_f64 v[76:77], v[10:11], s[14:15]
	v_fma_f64 v[4:5], v[52:53], s[14:15], -v[74:75]
	v_add_f64 v[36:37], v[198:199], -v[234:235]
	s_mov_b32 s25, 0xbfeca52d
	v_add_f64 v[2:3], v[178:179], v[2:3]
	v_add_f64 v[0:1], v[4:5], v[0:1]
	v_fma_f64 v[4:5], s[20:21], v[18:19], v[76:77]
	v_add_f64 v[8:9], v[232:233], v[196:197]
	v_add_f64 v[14:15], v[234:235], v[198:199]
	v_mul_f64 v[78:79], v[36:37], s[24:25]
	s_mov_b32 s26, 0xeb564b22
	v_add_f64 v[2:3], v[4:5], v[2:3]
	v_add_f64 v[24:25], v[196:197], -v[232:233]
	v_mul_f64 v[80:81], v[14:15], s[16:17]
	v_fma_f64 v[4:5], v[8:9], s[16:17], -v[78:79]
	v_add_f64 v[46:47], v[182:183], -v[226:227]
	s_mov_b32 s27, 0xbfefdd0d
	v_add_f64 v[0:1], v[4:5], v[0:1]
	v_fma_f64 v[4:5], s[24:25], v[24:25], v[80:81]
	v_add_f64 v[12:13], v[224:225], v[180:181]
	v_add_f64 v[22:23], v[226:227], v[182:183]
	v_mul_f64 v[82:83], v[46:47], s[26:27]
	s_mov_b32 s30, 0x923c349f
	v_add_f64 v[2:3], v[4:5], v[2:3]
	v_add_f64 v[30:31], v[180:181], -v[224:225]
	v_mul_f64 v[84:85], v[22:23], s[18:19]
	v_fma_f64 v[4:5], v[12:13], s[18:19], -v[82:83]
	v_add_f64 v[50:51], v[194:195], -v[218:219]
	s_mov_b32 s31, 0xbfeec746
	;; [unrolled: 12-line block ×3, first 2 shown]
	s_mov_b32 s37, 0xbfe9895b
	v_add_f64 v[0:1], v[4:5], v[0:1]
	v_fma_f64 v[4:5], s[30:31], v[38:39], v[88:89]
	v_add_f64 v[32:33], v[228:229], v[200:201]
	v_add_f64 v[44:45], v[230:231], v[202:203]
	s_mov_b32 s29, 0xbfe348c8
	v_mul_f64 v[90:91], v[58:59], s[36:37]
	s_mov_b32 s40, 0x4363dd80
	v_add_f64 v[2:3], v[4:5], v[2:3]
	v_add_f64 v[42:43], v[200:201], -v[228:229]
	v_mul_f64 v[92:93], v[44:45], s[28:29]
	v_fma_f64 v[4:5], v[32:33], s[28:29], -v[90:91]
	v_add_f64 v[66:67], v[206:207], -v[222:223]
	s_mov_b32 s34, 0x910ea3b9
	s_mov_b32 s41, 0xbfe0d888
	v_add_f64 v[0:1], v[4:5], v[0:1]
	v_fma_f64 v[4:5], s[36:37], v[42:43], v[92:93]
	v_add_f64 v[40:41], v[204:205], v[220:221]
	v_add_f64 v[48:49], v[206:207], v[222:223]
	s_mov_b32 s35, 0xbfeb34fa
	v_mul_f64 v[94:95], v[66:67], s[40:41]
	v_add_f64 v[2:3], v[4:5], v[2:3]
	v_add_f64 v[4:5], v[204:205], -v[220:221]
	v_mul_f64 v[104:105], v[48:49], s[34:35]
	v_fma_f64 v[6:7], v[40:41], s[34:35], -v[94:95]
	s_mov_b32 s44, 0xacd6c6b4
	v_add_f64 v[0:1], v[6:7], v[0:1]
	v_fma_f64 v[6:7], s[40:41], v[4:5], v[104:105]
	v_add_f64 v[68:69], v[210:211], -v[214:215]
	s_mov_b32 s38, 0x7faef3
	s_mov_b32 s45, 0xbfc7851a
	v_add_f64 v[2:3], v[6:7], v[2:3]
	v_add_f64 v[6:7], v[208:209], v[212:213]
	;; [unrolled: 1-line block ×3, first 2 shown]
	s_mov_b32 s39, 0xbfef7484
	v_mul_f64 v[106:107], v[68:69], s[44:45]
	v_add_f64 v[56:57], v[208:209], -v[212:213]
	v_mul_f64 v[242:243], v[64:65], s[38:39]
	v_fma_f64 v[60:61], v[6:7], s[38:39], -v[106:107]
	v_add_f64 v[240:241], v[60:61], v[0:1]
	v_accvgpr_write_b32 a138, v242
	v_fma_f64 v[0:1], s[44:45], v[56:57], v[242:243]
	v_accvgpr_write_b32 a139, v243
	v_add_f64 v[242:243], v[0:1], v[2:3]
	s_barrier
	s_and_saveexec_b64 s[2:3], vcc
	s_cbranch_execz .LBB0_17
; %bb.16:
	v_accvgpr_write_b32 a163, v85
	s_mov_b32 s49, 0x3fd71e95
	s_mov_b32 s48, s42
	v_accvgpr_write_b32 a161, v81
	v_accvgpr_write_b32 a162, v84
	v_mul_f64 v[84:85], v[28:29], s[44:45]
	v_accvgpr_write_b32 a151, v87
	v_accvgpr_write_b32 a157, v77
	;; [unrolled: 1-line block ×3, first 2 shown]
	v_mul_f64 v[80:81], v[18:19], s[48:49]
	v_accvgpr_write_b32 a149, v83
	v_accvgpr_write_b32 a150, v86
	v_fma_f64 v[86:87], s[38:39], v[54:55], v[84:85]
	v_accvgpr_write_b32 a68, v100
	s_mov_b32 s51, 0x3fe58eea
	s_mov_b32 s50, s20
	v_accvgpr_write_b32 a2, v248
	v_accvgpr_write_b32 a156, v76
	v_mul_f64 v[76:77], v[24:25], s[40:41]
	v_accvgpr_write_b32 a145, v79
	v_accvgpr_write_b32 a148, v82
	v_fma_f64 v[82:83], s[10:11], v[10:11], v[80:81]
	v_add_f64 v[86:87], v[178:179], v[86:87]
	v_accvgpr_write_b32 a60, v96
	v_accvgpr_write_b32 a69, v101
	;; [unrolled: 1-line block ×4, first 2 shown]
	v_mul_f64 v[100:101], v[16:17], s[44:45]
	v_accvgpr_write_b32 a129, v245          ;  Reload Reuse
	v_accvgpr_write_b32 a3, v249
	v_accvgpr_write_b32 a4, v250
	;; [unrolled: 1-line block ×3, first 2 shown]
	v_mul_f64 v[248:249], v[30:31], s[50:51]
	v_accvgpr_write_b32 a144, v78
	v_fma_f64 v[78:79], s[34:35], v[14:15], v[76:77]
	v_add_f64 v[82:83], v[82:83], v[86:87]
	v_accvgpr_write_b32 a171, v93
	v_accvgpr_write_b32 a61, v97
	;; [unrolled: 1-line block ×4, first 2 shown]
	v_mul_f64 v[96:97], v[26:27], s[48:49]
	v_fma_f64 v[102:103], v[254:255], s[38:39], -v[100:101]
	s_mov_b32 s47, 0x3feca52d
	s_mov_b32 s46, s24
	v_accvgpr_write_b32 a147, v73
	v_accvgpr_write_b32 a190, v244          ;  Reload Reuse
	v_accvgpr_write_b32 a124, v245
	v_mul_f64 v[244:245], v[38:39], s[36:37]
	v_fma_f64 v[250:251], s[14:15], v[22:23], v[248:249]
	v_add_f64 v[78:79], v[78:79], v[82:83]
	v_accvgpr_write_b32 a169, v89
	v_accvgpr_write_b32 a170, v92
	v_mul_f64 v[92:93], v[36:37], s[40:41]
	v_accvgpr_write_b32 a167, v95
	v_fma_f64 v[98:99], v[52:53], s[10:11], -v[96:97]
	v_add_f64 v[102:103], v[176:177], v[102:103]
	v_accvgpr_write_b32 a146, v72
	v_mul_f64 v[72:73], v[42:43], s[46:47]
	v_accvgpr_write_b32 a143, v75
	v_accvgpr_write_b32 a0, v246
	v_mov_b32_e32 v253, v247
	v_fma_f64 v[246:247], s[28:29], v[34:35], v[244:245]
	v_add_f64 v[78:79], v[250:251], v[78:79]
	v_accvgpr_write_b32 a168, v88
	v_mul_f64 v[88:89], v[46:47], s[50:51]
	v_accvgpr_write_b32 a165, v91
	v_accvgpr_write_b32 a166, v94
	v_fma_f64 v[94:95], v[8:9], s[34:35], -v[92:93]
	v_add_f64 v[98:99], v[98:99], v[102:103]
	s_mov_b32 s57, 0x3fefdd0d
	s_mov_b32 s56, s26
	v_mul_f64 v[60:61], v[4:5], s[30:31]
	v_accvgpr_write_b32 a141, v63
	v_accvgpr_write_b32 a142, v74
	v_fma_f64 v[74:75], s[16:17], v[44:45], v[72:73]
	v_add_f64 v[78:79], v[246:247], v[78:79]
	v_mul_f64 v[246:247], v[50:51], s[36:37]
	v_accvgpr_write_b32 a164, v90
	v_fma_f64 v[90:91], v[12:13], s[14:15], -v[88:89]
	v_add_f64 v[94:95], v[94:95], v[98:99]
	v_mul_f64 v[0:1], v[56:57], s[56:57]
	v_accvgpr_write_b32 a140, v62
	v_fma_f64 v[62:63], s[22:23], v[48:49], v[60:61]
	v_add_f64 v[74:75], v[74:75], v[78:79]
	v_mul_f64 v[82:83], v[58:59], s[46:47]
	v_fma_f64 v[250:251], v[20:21], s[28:29], -v[246:247]
	v_add_f64 v[90:91], v[90:91], v[94:95]
	v_fma_f64 v[2:3], s[18:19], v[64:65], v[0:1]
	v_add_f64 v[62:63], v[62:63], v[74:75]
	v_accvgpr_write_b32 a159, v107
	v_mul_f64 v[74:75], v[66:67], s[30:31]
	v_fma_f64 v[86:87], v[32:33], s[16:17], -v[82:83]
	v_add_f64 v[90:91], v[250:251], v[90:91]
	v_fma_f64 v[84:85], v[54:55], s[38:39], -v[84:85]
	v_accvgpr_write_b32 a158, v106
	v_add_f64 v[106:107], v[2:3], v[62:63]
	v_mul_f64 v[2:3], v[68:69], s[56:57]
	v_fma_f64 v[78:79], v[40:41], s[22:23], -v[74:75]
	v_add_f64 v[86:87], v[86:87], v[90:91]
	v_fma_f64 v[80:81], v[10:11], s[10:11], -v[80:81]
	v_add_f64 v[84:85], v[178:179], v[84:85]
	;; [unrolled: 2-line block ×3, first 2 shown]
	v_accvgpr_write_b32 a173, v105
	v_fma_f64 v[76:77], v[14:15], s[34:35], -v[76:77]
	v_add_f64 v[80:81], v[80:81], v[84:85]
	v_accvgpr_write_b32 a172, v104
	v_add_f64 v[104:105], v[62:63], v[78:79]
	v_fma_f64 v[78:79], v[22:23], s[14:15], -v[248:249]
	v_add_f64 v[76:77], v[76:77], v[80:81]
	v_fma_f64 v[62:63], v[44:45], s[16:17], -v[72:73]
	v_fma_f64 v[72:73], v[34:35], s[28:29], -v[244:245]
	v_add_f64 v[76:77], v[78:79], v[76:77]
	v_add_f64 v[72:73], v[72:73], v[76:77]
	v_fma_f64 v[60:61], v[48:49], s[22:23], -v[60:61]
	v_add_f64 v[62:63], v[62:63], v[72:73]
	v_fma_f64 v[0:1], v[64:65], s[18:19], -v[0:1]
	v_add_f64 v[60:61], v[60:61], v[62:63]
	v_fmac_f64_e32 v[100:101], s[38:39], v[254:255]
	v_add_f64 v[62:63], v[0:1], v[60:61]
	v_fmac_f64_e32 v[96:97], s[10:11], v[52:53]
	;; [unrolled: 2-line block ×4, first 2 shown]
	v_add_f64 v[0:1], v[92:93], v[0:1]
	v_mul_f64 v[92:93], v[28:29], s[40:41]
	v_fmac_f64_e32 v[246:247], s[28:29], v[20:21]
	v_add_f64 v[0:1], v[88:89], v[0:1]
	v_mul_f64 v[88:89], v[18:19], s[46:47]
	v_fma_f64 v[94:95], s[34:35], v[54:55], v[92:93]
	v_fmac_f64_e32 v[82:83], s[16:17], v[32:33]
	v_add_f64 v[0:1], v[246:247], v[0:1]
	s_mov_b32 s59, 0x3fe9895b
	s_mov_b32 s58, s36
	v_mul_f64 v[84:85], v[24:25], s[26:27]
	v_fma_f64 v[90:91], s[16:17], v[10:11], v[88:89]
	v_add_f64 v[94:95], v[178:179], v[94:95]
	v_mul_f64 v[248:249], v[16:17], s[40:41]
	v_fmac_f64_e32 v[74:75], s[22:23], v[40:41]
	v_add_f64 v[0:1], v[82:83], v[0:1]
	v_mul_f64 v[80:81], v[30:31], s[58:59]
	v_fma_f64 v[86:87], s[18:19], v[14:15], v[84:85]
	v_add_f64 v[90:91], v[90:91], v[94:95]
	v_mul_f64 v[244:245], v[26:27], s[46:47]
	v_fma_f64 v[250:251], v[254:255], s[34:35], -v[248:249]
	v_fmac_f64_e32 v[2:3], s[18:19], v[6:7]
	v_add_f64 v[0:1], v[74:75], v[0:1]
	v_mul_f64 v[76:77], v[38:39], s[42:43]
	v_fma_f64 v[82:83], s[28:29], v[22:23], v[80:81]
	v_add_f64 v[86:87], v[86:87], v[90:91]
	v_mul_f64 v[100:101], v[36:37], s[26:27]
	v_fma_f64 v[246:247], v[52:53], s[16:17], -v[244:245]
	v_add_f64 v[250:251], v[176:177], v[250:251]
	v_add_f64 v[60:61], v[2:3], v[0:1]
	v_accvgpr_write_b32 a137, v63
	v_mul_f64 v[72:73], v[42:43], s[44:45]
	v_fma_f64 v[78:79], s[10:11], v[34:35], v[76:77]
	v_add_f64 v[82:83], v[82:83], v[86:87]
	v_mul_f64 v[96:97], v[46:47], s[58:59]
	v_fma_f64 v[102:103], v[8:9], s[18:19], -v[100:101]
	v_add_f64 v[246:247], v[246:247], v[250:251]
	v_accvgpr_write_b32 a136, v62
	v_accvgpr_write_b32 a135, v61
	;; [unrolled: 1-line block ×3, first 2 shown]
	v_mul_f64 v[60:61], v[4:5], s[50:51]
	v_fma_f64 v[74:75], s[38:39], v[44:45], v[72:73]
	v_add_f64 v[78:79], v[78:79], v[82:83]
	v_mul_f64 v[90:91], v[50:51], s[42:43]
	v_fma_f64 v[98:99], v[12:13], s[28:29], -v[96:97]
	v_add_f64 v[102:103], v[102:103], v[246:247]
	v_mul_f64 v[0:1], v[56:57], s[30:31]
	v_fma_f64 v[62:63], s[14:15], v[48:49], v[60:61]
	v_add_f64 v[74:75], v[74:75], v[78:79]
	v_mul_f64 v[82:83], v[58:59], s[44:45]
	v_fma_f64 v[94:95], v[20:21], s[10:11], -v[90:91]
	v_add_f64 v[98:99], v[98:99], v[102:103]
	v_accvgpr_write_b32 a133, v107
	v_fma_f64 v[2:3], s[22:23], v[64:65], v[0:1]
	v_add_f64 v[62:63], v[62:63], v[74:75]
	v_mul_f64 v[74:75], v[66:67], s[50:51]
	v_fma_f64 v[86:87], v[32:33], s[38:39], -v[82:83]
	v_add_f64 v[94:95], v[94:95], v[98:99]
	v_accvgpr_write_b32 a132, v106
	v_accvgpr_write_b32 a131, v105
	;; [unrolled: 1-line block ×3, first 2 shown]
	v_add_f64 v[104:105], v[2:3], v[62:63]
	v_mul_f64 v[2:3], v[68:69], s[30:31]
	v_fma_f64 v[78:79], v[40:41], s[14:15], -v[74:75]
	v_add_f64 v[86:87], v[86:87], v[94:95]
	v_fma_f64 v[62:63], v[6:7], s[22:23], -v[2:3]
	v_add_f64 v[78:79], v[78:79], v[86:87]
	v_add_f64 v[102:103], v[62:63], v[78:79]
	v_fma_f64 v[78:79], v[14:15], s[18:19], -v[84:85]
	v_fma_f64 v[84:85], v[54:55], s[34:35], -v[92:93]
	;; [unrolled: 1-line block ×6, first 2 shown]
	v_add_f64 v[84:85], v[178:179], v[84:85]
	v_add_f64 v[80:81], v[80:81], v[84:85]
	;; [unrolled: 1-line block ×5, first 2 shown]
	v_fma_f64 v[60:61], v[48:49], s[14:15], -v[60:61]
	v_add_f64 v[62:63], v[62:63], v[72:73]
	v_fma_f64 v[0:1], v[64:65], s[22:23], -v[0:1]
	v_add_f64 v[60:61], v[60:61], v[62:63]
	v_fmac_f64_e32 v[248:249], s[34:35], v[254:255]
	v_add_f64 v[62:63], v[0:1], v[60:61]
	v_fmac_f64_e32 v[244:245], s[16:17], v[52:53]
	;; [unrolled: 2-line block ×4, first 2 shown]
	v_add_f64 v[0:1], v[100:101], v[0:1]
	s_mov_b32 s53, 0x3feec746
	s_mov_b32 s52, s30
	v_mul_f64 v[92:93], v[28:29], s[36:37]
	v_fmac_f64_e32 v[90:91], s[10:11], v[20:21]
	v_add_f64 v[0:1], v[96:97], v[0:1]
	v_mul_f64 v[88:89], v[18:19], s[52:53]
	v_fma_f64 v[94:95], s[28:29], v[54:55], v[92:93]
	v_fmac_f64_e32 v[82:83], s[38:39], v[32:33]
	v_add_f64 v[0:1], v[90:91], v[0:1]
	v_mul_f64 v[84:85], v[24:25], s[42:43]
	v_fma_f64 v[90:91], s[22:23], v[10:11], v[88:89]
	v_add_f64 v[94:95], v[178:179], v[94:95]
	v_mul_f64 v[248:249], v[16:17], s[36:37]
	v_fmac_f64_e32 v[74:75], s[14:15], v[40:41]
	v_add_f64 v[0:1], v[82:83], v[0:1]
	v_mul_f64 v[80:81], v[30:31], s[40:41]
	v_fma_f64 v[86:87], s[10:11], v[14:15], v[84:85]
	v_add_f64 v[90:91], v[90:91], v[94:95]
	v_mul_f64 v[244:245], v[26:27], s[52:53]
	v_fma_f64 v[250:251], v[254:255], s[28:29], -v[248:249]
	v_accvgpr_write_b32 a155, v105
	v_fmac_f64_e32 v[2:3], s[22:23], v[6:7]
	v_add_f64 v[0:1], v[74:75], v[0:1]
	v_mul_f64 v[76:77], v[38:39], s[56:57]
	v_fma_f64 v[82:83], s[34:35], v[22:23], v[80:81]
	v_add_f64 v[86:87], v[86:87], v[90:91]
	v_mul_f64 v[100:101], v[36:37], s[42:43]
	v_fma_f64 v[246:247], v[52:53], s[22:23], -v[244:245]
	v_add_f64 v[250:251], v[176:177], v[250:251]
	v_accvgpr_write_b32 a154, v104
	v_accvgpr_write_b32 a153, v103
	;; [unrolled: 1-line block ×3, first 2 shown]
	v_add_f64 v[60:61], v[2:3], v[0:1]
	v_accvgpr_write_b32 a177, v63
	v_mul_f64 v[72:73], v[42:43], s[20:21]
	v_fma_f64 v[78:79], s[18:19], v[34:35], v[76:77]
	v_add_f64 v[82:83], v[82:83], v[86:87]
	v_mul_f64 v[96:97], v[46:47], s[40:41]
	v_fma_f64 v[102:103], v[8:9], s[10:11], -v[100:101]
	v_add_f64 v[246:247], v[246:247], v[250:251]
	v_accvgpr_write_b32 a176, v62
	v_accvgpr_write_b32 a175, v61
	;; [unrolled: 1-line block ×3, first 2 shown]
	v_mul_f64 v[60:61], v[4:5], s[44:45]
	v_fma_f64 v[74:75], s[14:15], v[44:45], v[72:73]
	v_add_f64 v[78:79], v[78:79], v[82:83]
	v_mul_f64 v[90:91], v[50:51], s[56:57]
	v_fma_f64 v[98:99], v[12:13], s[34:35], -v[96:97]
	v_add_f64 v[102:103], v[102:103], v[246:247]
	v_mul_f64 v[0:1], v[56:57], s[46:47]
	v_fma_f64 v[62:63], s[38:39], v[48:49], v[60:61]
	v_add_f64 v[74:75], v[74:75], v[78:79]
	v_mul_f64 v[82:83], v[58:59], s[20:21]
	v_fma_f64 v[94:95], v[20:21], s[18:19], -v[90:91]
	v_add_f64 v[98:99], v[98:99], v[102:103]
	v_fma_f64 v[2:3], s[16:17], v[64:65], v[0:1]
	v_add_f64 v[62:63], v[62:63], v[74:75]
	v_mul_f64 v[74:75], v[66:67], s[44:45]
	v_fma_f64 v[86:87], v[32:33], s[14:15], -v[82:83]
	v_add_f64 v[94:95], v[94:95], v[98:99]
	v_add_f64 v[104:105], v[2:3], v[62:63]
	v_mul_f64 v[2:3], v[68:69], s[46:47]
	v_fma_f64 v[78:79], v[40:41], s[38:39], -v[74:75]
	v_add_f64 v[86:87], v[86:87], v[94:95]
	v_fma_f64 v[62:63], v[6:7], s[16:17], -v[2:3]
	v_add_f64 v[78:79], v[78:79], v[86:87]
	v_add_f64 v[102:103], v[62:63], v[78:79]
	v_fma_f64 v[78:79], v[14:15], s[10:11], -v[84:85]
	v_fma_f64 v[84:85], v[54:55], s[28:29], -v[92:93]
	;; [unrolled: 1-line block ×6, first 2 shown]
	v_add_f64 v[84:85], v[178:179], v[84:85]
	v_add_f64 v[80:81], v[80:81], v[84:85]
	;; [unrolled: 1-line block ×5, first 2 shown]
	v_fma_f64 v[60:61], v[48:49], s[38:39], -v[60:61]
	v_add_f64 v[62:63], v[62:63], v[72:73]
	v_fma_f64 v[0:1], v[64:65], s[16:17], -v[0:1]
	v_add_f64 v[60:61], v[60:61], v[62:63]
	v_fmac_f64_e32 v[248:249], s[28:29], v[254:255]
	v_add_f64 v[62:63], v[0:1], v[60:61]
	v_fmac_f64_e32 v[244:245], s[22:23], v[52:53]
	;; [unrolled: 2-line block ×4, first 2 shown]
	v_add_f64 v[0:1], v[100:101], v[0:1]
	s_mov_b32 s55, 0x3fe0d888
	s_mov_b32 s54, s40
	v_mul_f64 v[92:93], v[28:29], s[30:31]
	v_fmac_f64_e32 v[90:91], s[18:19], v[20:21]
	v_add_f64 v[0:1], v[96:97], v[0:1]
	v_mul_f64 v[88:89], v[18:19], s[54:55]
	v_fma_f64 v[94:95], s[22:23], v[54:55], v[92:93]
	v_accvgpr_write_b32 a181, v105
	v_fmac_f64_e32 v[82:83], s[14:15], v[32:33]
	v_add_f64 v[0:1], v[90:91], v[0:1]
	v_mul_f64 v[84:85], v[24:25], s[50:51]
	v_fma_f64 v[90:91], s[34:35], v[10:11], v[88:89]
	v_add_f64 v[94:95], v[178:179], v[94:95]
	v_mul_f64 v[246:247], v[16:17], s[30:31]
	v_accvgpr_write_b32 a180, v104
	v_accvgpr_write_b32 a179, v103
	;; [unrolled: 1-line block ×3, first 2 shown]
	v_fmac_f64_e32 v[74:75], s[38:39], v[40:41]
	v_add_f64 v[0:1], v[82:83], v[0:1]
	v_mul_f64 v[80:81], v[30:31], s[24:25]
	v_fma_f64 v[86:87], s[14:15], v[14:15], v[84:85]
	v_add_f64 v[90:91], v[90:91], v[94:95]
	v_mul_f64 v[102:103], v[26:27], s[54:55]
	v_fma_f64 v[248:249], v[254:255], s[22:23], -v[246:247]
	v_fmac_f64_e32 v[2:3], s[16:17], v[6:7]
	v_add_f64 v[0:1], v[74:75], v[0:1]
	v_mul_f64 v[76:77], v[38:39], s[44:45]
	v_fma_f64 v[82:83], s[16:17], v[22:23], v[80:81]
	v_add_f64 v[86:87], v[86:87], v[90:91]
	v_mul_f64 v[100:101], v[36:37], s[50:51]
	v_fma_f64 v[244:245], v[52:53], s[34:35], -v[102:103]
	v_add_f64 v[248:249], v[176:177], v[248:249]
	v_add_f64 v[60:61], v[2:3], v[0:1]
	v_accvgpr_write_b32 a185, v63
	v_mul_f64 v[72:73], v[42:43], s[56:57]
	v_fma_f64 v[78:79], s[38:39], v[34:35], v[76:77]
	v_add_f64 v[82:83], v[82:83], v[86:87]
	v_mul_f64 v[96:97], v[46:47], s[24:25]
	v_add_f64 v[244:245], v[244:245], v[248:249]
	v_fma_f64 v[248:249], v[8:9], s[14:15], -v[100:101]
	v_accvgpr_write_b32 a184, v62
	v_accvgpr_write_b32 a183, v61
	;; [unrolled: 1-line block ×3, first 2 shown]
	v_mul_f64 v[60:61], v[4:5], s[42:43]
	v_fma_f64 v[74:75], s[18:19], v[44:45], v[72:73]
	v_add_f64 v[78:79], v[78:79], v[82:83]
	v_mul_f64 v[90:91], v[50:51], s[44:45]
	v_fma_f64 v[98:99], v[12:13], s[16:17], -v[96:97]
	v_add_f64 v[244:245], v[248:249], v[244:245]
	v_mul_f64 v[0:1], v[56:57], s[36:37]
	v_fma_f64 v[62:63], s[10:11], v[48:49], v[60:61]
	v_add_f64 v[74:75], v[74:75], v[78:79]
	v_mul_f64 v[82:83], v[58:59], s[56:57]
	v_fma_f64 v[94:95], v[20:21], s[38:39], -v[90:91]
	v_add_f64 v[98:99], v[98:99], v[244:245]
	v_fma_f64 v[2:3], s[28:29], v[64:65], v[0:1]
	v_add_f64 v[62:63], v[62:63], v[74:75]
	v_mul_f64 v[74:75], v[66:67], s[42:43]
	v_fma_f64 v[86:87], v[32:33], s[18:19], -v[82:83]
	v_add_f64 v[94:95], v[94:95], v[98:99]
	v_add_f64 v[106:107], v[2:3], v[62:63]
	v_mul_f64 v[2:3], v[68:69], s[36:37]
	v_fma_f64 v[78:79], v[40:41], s[10:11], -v[74:75]
	v_add_f64 v[86:87], v[86:87], v[94:95]
	v_fma_f64 v[62:63], v[6:7], s[28:29], -v[2:3]
	v_add_f64 v[78:79], v[78:79], v[86:87]
	v_add_f64 v[104:105], v[62:63], v[78:79]
	v_fma_f64 v[78:79], v[14:15], s[14:15], -v[84:85]
	v_fma_f64 v[84:85], v[54:55], s[22:23], -v[92:93]
	;; [unrolled: 1-line block ×6, first 2 shown]
	v_add_f64 v[84:85], v[178:179], v[84:85]
	v_add_f64 v[80:81], v[80:81], v[84:85]
	;; [unrolled: 1-line block ×5, first 2 shown]
	v_fma_f64 v[60:61], v[48:49], s[10:11], -v[60:61]
	v_add_f64 v[62:63], v[62:63], v[72:73]
	v_fma_f64 v[0:1], v[64:65], s[28:29], -v[0:1]
	v_add_f64 v[60:61], v[60:61], v[62:63]
	v_fmac_f64_e32 v[246:247], s[22:23], v[254:255]
	v_add_f64 v[62:63], v[0:1], v[60:61]
	v_fmac_f64_e32 v[102:103], s[34:35], v[52:53]
	;; [unrolled: 2-line block ×4, first 2 shown]
	v_add_f64 v[0:1], v[100:101], v[0:1]
	v_add_f64 v[0:1], v[96:97], v[0:1]
	v_mul_f64 v[96:97], v[28:29], s[26:27]
	v_mul_f64 v[92:93], v[18:19], s[44:45]
	v_fma_f64 v[98:99], s[18:19], v[54:55], v[96:97]
	v_mul_f64 v[244:245], v[16:17], s[26:27]
	v_fma_f64 v[96:97], v[54:55], s[18:19], -v[96:97]
	v_fmac_f64_e32 v[90:91], s[38:39], v[20:21]
	v_mul_f64 v[88:89], v[24:25], s[52:53]
	v_fma_f64 v[94:95], s[38:39], v[10:11], v[92:93]
	v_add_f64 v[98:99], v[178:179], v[98:99]
	v_mul_f64 v[100:101], v[26:27], s[44:45]
	v_fma_f64 v[246:247], v[254:255], s[18:19], -v[244:245]
	v_fma_f64 v[92:93], v[10:11], s[38:39], -v[92:93]
	v_add_f64 v[96:97], v[178:179], v[96:97]
	v_add_f64 v[0:1], v[90:91], v[0:1]
	v_mul_f64 v[84:85], v[30:31], s[48:49]
	v_fma_f64 v[90:91], s[22:23], v[14:15], v[88:89]
	v_add_f64 v[94:95], v[94:95], v[98:99]
	v_mul_f64 v[98:99], v[36:37], s[52:53]
	v_fma_f64 v[102:103], v[52:53], s[38:39], -v[100:101]
	v_add_f64 v[246:247], v[176:177], v[246:247]
	v_fma_f64 v[88:89], v[14:15], s[22:23], -v[88:89]
	v_add_f64 v[92:93], v[92:93], v[96:97]
	v_fmac_f64_e32 v[82:83], s[18:19], v[32:33]
	v_mul_f64 v[80:81], v[38:39], s[24:25]
	v_fma_f64 v[86:87], s[10:11], v[22:23], v[84:85]
	v_add_f64 v[90:91], v[90:91], v[94:95]
	v_mul_f64 v[94:95], v[46:47], s[48:49]
	v_add_f64 v[102:103], v[102:103], v[246:247]
	v_fma_f64 v[246:247], v[8:9], s[22:23], -v[98:99]
	v_fma_f64 v[84:85], v[22:23], s[10:11], -v[84:85]
	v_add_f64 v[88:89], v[88:89], v[92:93]
	v_fmac_f64_e32 v[74:75], s[10:11], v[40:41]
	v_add_f64 v[0:1], v[82:83], v[0:1]
	v_mul_f64 v[76:77], v[42:43], s[40:41]
	v_fma_f64 v[82:83], s[16:17], v[34:35], v[80:81]
	v_add_f64 v[86:87], v[86:87], v[90:91]
	v_mul_f64 v[90:91], v[50:51], s[24:25]
	v_add_f64 v[102:103], v[246:247], v[102:103]
	v_fma_f64 v[246:247], v[12:13], s[10:11], -v[94:95]
	v_fma_f64 v[80:81], v[34:35], s[16:17], -v[80:81]
	v_add_f64 v[84:85], v[84:85], v[88:89]
	v_fmac_f64_e32 v[2:3], s[28:29], v[6:7]
	v_add_f64 v[0:1], v[74:75], v[0:1]
	v_mul_f64 v[74:75], v[4:5], s[58:59]
	v_fma_f64 v[78:79], s[34:35], v[44:45], v[76:77]
	v_add_f64 v[82:83], v[82:83], v[86:87]
	v_mul_f64 v[86:87], v[58:59], s[40:41]
	v_add_f64 v[102:103], v[246:247], v[102:103]
	v_fma_f64 v[246:247], v[20:21], s[16:17], -v[90:91]
	v_fma_f64 v[76:77], v[44:45], s[34:35], -v[76:77]
	v_add_f64 v[80:81], v[80:81], v[84:85]
	v_add_f64 v[60:61], v[2:3], v[0:1]
	v_mul_f64 v[72:73], v[56:57], s[50:51]
	v_fma_f64 v[2:3], s[28:29], v[48:49], v[74:75]
	v_add_f64 v[78:79], v[78:79], v[82:83]
	v_mul_f64 v[82:83], v[66:67], s[58:59]
	v_add_f64 v[102:103], v[246:247], v[102:103]
	v_fma_f64 v[246:247], v[32:33], s[34:35], -v[86:87]
	v_fma_f64 v[74:75], v[48:49], s[28:29], -v[74:75]
	v_add_f64 v[76:77], v[76:77], v[80:81]
	v_fma_f64 v[0:1], s[14:15], v[64:65], v[72:73]
	v_add_f64 v[102:103], v[246:247], v[102:103]
	v_fma_f64 v[246:247], v[40:41], s[28:29], -v[82:83]
	v_fma_f64 v[72:73], v[64:65], s[14:15], -v[72:73]
	v_add_f64 v[74:75], v[74:75], v[76:77]
	v_fmac_f64_e32 v[244:245], s[18:19], v[254:255]
	v_add_f64 v[102:103], v[246:247], v[102:103]
	v_add_f64 v[246:247], v[72:73], v[74:75]
	v_fmac_f64_e32 v[100:101], s[38:39], v[52:53]
	v_add_f64 v[72:73], v[176:177], v[244:245]
	v_add_f64 v[2:3], v[2:3], v[78:79]
	v_mul_f64 v[78:79], v[68:69], s[50:51]
	v_fmac_f64_e32 v[98:99], s[22:23], v[8:9]
	v_add_f64 v[72:73], v[100:101], v[72:73]
	v_mul_f64 v[96:97], v[28:29], s[24:25]
	v_add_f64 v[2:3], v[0:1], v[2:3]
	v_fma_f64 v[0:1], v[6:7], s[14:15], -v[78:79]
	v_fmac_f64_e32 v[94:95], s[10:11], v[12:13]
	v_add_f64 v[72:73], v[98:99], v[72:73]
	s_mov_b32 s57, 0x3fc7851a
	s_mov_b32 s56, s44
	v_mul_f64 v[92:93], v[18:19], s[36:37]
	v_fma_f64 v[98:99], s[16:17], v[54:55], v[96:97]
	v_add_f64 v[0:1], v[0:1], v[102:103]
	v_fmac_f64_e32 v[90:91], s[16:17], v[20:21]
	v_add_f64 v[72:73], v[94:95], v[72:73]
	v_mul_f64 v[88:89], v[24:25], s[56:57]
	v_fma_f64 v[94:95], s[28:29], v[10:11], v[92:93]
	v_add_f64 v[98:99], v[178:179], v[98:99]
	v_mul_f64 v[102:103], v[16:17], s[24:25]
	v_fmac_f64_e32 v[86:87], s[34:35], v[32:33]
	v_add_f64 v[72:73], v[90:91], v[72:73]
	v_mul_f64 v[84:85], v[30:31], s[52:53]
	v_fma_f64 v[90:91], s[38:39], v[14:15], v[88:89]
	v_add_f64 v[94:95], v[94:95], v[98:99]
	v_mul_f64 v[98:99], v[26:27], s[36:37]
	v_fma_f64 v[248:249], v[254:255], s[16:17], -v[102:103]
	v_fmac_f64_e32 v[82:83], s[28:29], v[40:41]
	v_add_f64 v[72:73], v[86:87], v[72:73]
	v_mul_f64 v[80:81], v[38:39], s[50:51]
	v_fma_f64 v[86:87], s[22:23], v[22:23], v[84:85]
	v_add_f64 v[90:91], v[90:91], v[94:95]
	v_mul_f64 v[94:95], v[36:37], s[56:57]
	v_fma_f64 v[100:101], v[52:53], s[28:29], -v[98:99]
	v_add_f64 v[248:249], v[176:177], v[248:249]
	v_fmac_f64_e32 v[78:79], s[14:15], v[6:7]
	v_add_f64 v[72:73], v[82:83], v[72:73]
	v_mul_f64 v[76:77], v[42:43], s[42:43]
	v_fma_f64 v[82:83], s[14:15], v[34:35], v[80:81]
	v_add_f64 v[86:87], v[86:87], v[90:91]
	v_mul_f64 v[90:91], v[46:47], s[52:53]
	v_add_f64 v[100:101], v[100:101], v[248:249]
	v_fma_f64 v[248:249], v[8:9], s[38:39], -v[94:95]
	v_accvgpr_write_b32 a189, v107
	v_add_f64 v[244:245], v[78:79], v[72:73]
	v_mul_f64 v[72:73], v[4:5], s[26:27]
	v_fma_f64 v[78:79], s[10:11], v[44:45], v[76:77]
	v_add_f64 v[82:83], v[82:83], v[86:87]
	v_mul_f64 v[86:87], v[50:51], s[50:51]
	v_add_f64 v[100:101], v[248:249], v[100:101]
	v_fma_f64 v[248:249], v[12:13], s[22:23], -v[90:91]
	v_accvgpr_write_b32 a188, v106
	v_accvgpr_write_b32 a187, v105
	;; [unrolled: 1-line block ×3, first 2 shown]
	v_fma_f64 v[74:75], s[18:19], v[48:49], v[72:73]
	v_add_f64 v[78:79], v[78:79], v[82:83]
	v_mul_f64 v[82:83], v[58:59], s[42:43]
	v_add_f64 v[100:101], v[248:249], v[100:101]
	v_fma_f64 v[248:249], v[20:21], s[14:15], -v[86:87]
	v_mul_f64 v[104:105], v[56:57], s[40:41]
	v_add_f64 v[74:75], v[74:75], v[78:79]
	v_mul_f64 v[78:79], v[66:67], s[26:27]
	v_add_f64 v[100:101], v[248:249], v[100:101]
	v_fma_f64 v[248:249], v[32:33], s[10:11], -v[82:83]
	v_fma_f64 v[106:107], s[34:35], v[64:65], v[104:105]
	v_add_f64 v[100:101], v[248:249], v[100:101]
	v_fma_f64 v[248:249], v[40:41], s[18:19], -v[78:79]
	v_add_f64 v[250:251], v[106:107], v[74:75]
	v_mul_f64 v[106:107], v[68:69], s[40:41]
	v_add_f64 v[100:101], v[248:249], v[100:101]
	v_fma_f64 v[74:75], v[6:7], s[34:35], -v[106:107]
	v_add_f64 v[248:249], v[74:75], v[100:101]
	v_fma_f64 v[74:75], v[10:11], s[28:29], -v[92:93]
	v_fma_f64 v[92:93], v[54:55], s[16:17], -v[96:97]
	v_add_f64 v[92:93], v[178:179], v[92:93]
	v_add_f64 v[74:75], v[74:75], v[92:93]
	v_fma_f64 v[88:89], v[14:15], s[38:39], -v[88:89]
	v_add_f64 v[74:75], v[88:89], v[74:75]
	v_fma_f64 v[84:85], v[22:23], s[22:23], -v[84:85]
	;; [unrolled: 2-line block ×5, first 2 shown]
	v_fmac_f64_e32 v[102:103], s[16:17], v[254:255]
	v_add_f64 v[72:73], v[72:73], v[74:75]
	v_fmac_f64_e32 v[98:99], s[28:29], v[52:53]
	v_add_f64 v[74:75], v[176:177], v[102:103]
	v_mul_f64 v[100:101], v[28:29], s[20:21]
	v_mul_f64 v[84:85], v[28:29], s[42:43]
	v_add_f64 v[76:77], v[98:99], v[74:75]
	v_fma_f64 v[74:75], v[64:65], s[34:35], -v[104:105]
	v_fmac_f64_e32 v[94:95], s[38:39], v[8:9]
	v_mul_f64 v[96:97], v[18:19], s[26:27]
	v_fma_f64 v[28:29], s[14:15], v[54:55], v[100:101]
	v_add_f64 v[74:75], v[74:75], v[72:73]
	v_add_f64 v[72:73], v[94:95], v[76:77]
	v_mul_f64 v[94:95], v[24:25], s[36:37]
	v_fma_f64 v[98:99], s[18:19], v[10:11], v[96:97]
	v_add_f64 v[28:29], v[178:179], v[28:29]
	v_fmac_f64_e32 v[90:91], s[22:23], v[12:13]
	v_mul_f64 v[92:93], v[30:31], s[44:45]
	v_add_f64 v[28:29], v[98:99], v[28:29]
	v_fma_f64 v[98:99], s[28:29], v[14:15], v[94:95]
	v_fmac_f64_e32 v[86:87], s[14:15], v[20:21]
	v_add_f64 v[72:73], v[90:91], v[72:73]
	v_mul_f64 v[90:91], v[38:39], s[54:55]
	v_add_f64 v[28:29], v[98:99], v[28:29]
	v_fma_f64 v[98:99], s[38:39], v[22:23], v[92:93]
	v_add_f64 v[72:73], v[86:87], v[72:73]
	v_mul_f64 v[86:87], v[42:43], s[52:53]
	v_add_f64 v[28:29], v[98:99], v[28:29]
	v_fma_f64 v[98:99], s[34:35], v[34:35], v[90:91]
	v_fmac_f64_e32 v[82:83], s[10:11], v[32:33]
	v_mul_f64 v[80:81], v[4:5], s[46:47]
	v_add_f64 v[28:29], v[98:99], v[28:29]
	v_fma_f64 v[98:99], s[22:23], v[44:45], v[86:87]
	v_fmac_f64_e32 v[78:79], s[18:19], v[40:41]
	v_add_f64 v[72:73], v[82:83], v[72:73]
	v_mul_f64 v[76:77], v[56:57], s[48:49]
	v_fma_f64 v[82:83], s[16:17], v[48:49], v[80:81]
	v_add_f64 v[28:29], v[98:99], v[28:29]
	v_add_f64 v[72:73], v[78:79], v[72:73]
	v_fma_f64 v[78:79], s[10:11], v[64:65], v[76:77]
	v_add_f64 v[28:29], v[82:83], v[28:29]
	v_mul_f64 v[16:17], v[16:17], s[20:21]
	v_add_f64 v[28:29], v[78:79], v[28:29]
	v_mul_f64 v[78:79], v[26:27], s[26:27]
	v_fma_f64 v[82:83], v[254:255], s[14:15], -v[16:17]
	v_mul_f64 v[36:37], v[36:37], s[36:37]
	v_fma_f64 v[26:27], v[52:53], s[18:19], -v[78:79]
	v_add_f64 v[82:83], v[176:177], v[82:83]
	v_fma_f64 v[54:55], v[54:55], s[14:15], -v[100:101]
	v_mul_f64 v[46:47], v[46:47], s[44:45]
	v_add_f64 v[26:27], v[26:27], v[82:83]
	v_fma_f64 v[82:83], v[8:9], s[28:29], -v[36:37]
	v_fma_f64 v[10:11], v[10:11], s[18:19], -v[96:97]
	v_add_f64 v[54:55], v[178:179], v[54:55]
	v_mul_f64 v[50:51], v[50:51], s[54:55]
	v_add_f64 v[26:27], v[82:83], v[26:27]
	v_fma_f64 v[82:83], v[12:13], s[38:39], -v[46:47]
	v_fma_f64 v[14:15], v[14:15], s[28:29], -v[94:95]
	v_add_f64 v[10:11], v[10:11], v[54:55]
	;; [unrolled: 5-line block ×3, first 2 shown]
	v_mul_f64 v[66:67], v[66:67], s[46:47]
	v_add_f64 v[26:27], v[82:83], v[26:27]
	v_fma_f64 v[82:83], v[32:33], s[22:23], -v[58:59]
	v_add_f64 v[10:11], v[22:23], v[10:11]
	v_accvgpr_read_b32 v22, a156
	v_mul_f64 v[68:69], v[68:69], s[48:49]
	v_add_f64 v[26:27], v[82:83], v[26:27]
	v_fma_f64 v[82:83], v[40:41], s[16:17], -v[66:67]
	v_mul_f64 v[18:19], v[18:19], s[20:21]
	v_fmac_f64_e32 v[16:17], s[14:15], v[254:255]
	v_accvgpr_read_b32 v23, a157
	v_fmac_f64_e32 v[106:107], s[34:35], v[6:7]
	v_add_f64 v[26:27], v[82:83], v[26:27]
	v_fma_f64 v[82:83], v[6:7], s[10:11], -v[68:69]
	v_mul_f64 v[92:93], v[6:7], s[38:39]
	v_fmac_f64_e32 v[68:69], s[10:11], v[6:7]
	v_fmac_f64_e32 v[78:79], s[18:19], v[52:53]
	v_add_f64 v[6:7], v[176:177], v[16:17]
	v_add_f64 v[18:19], v[22:23], -v[18:19]
	v_accvgpr_read_b32 v22, a146
	v_fma_f64 v[48:49], v[48:49], s[16:17], -v[80:81]
	v_mul_f64 v[80:81], v[20:21], s[22:23]
	v_fmac_f64_e32 v[50:51], s[34:35], v[20:21]
	v_fmac_f64_e32 v[36:37], s[28:29], v[8:9]
	v_add_f64 v[6:7], v[78:79], v[6:7]
	v_accvgpr_read_b32 v20, a160
	v_accvgpr_read_b32 v23, a147
	v_mul_f64 v[24:25], v[24:25], s[24:25]
	v_fmac_f64_e32 v[46:47], s[38:39], v[12:13]
	v_add_f64 v[6:7], v[36:37], v[6:7]
	v_accvgpr_read_b32 v21, a161
	v_add_f64 v[22:23], v[22:23], -v[84:85]
	v_fma_f64 v[64:65], v[64:65], s[10:11], -v[76:77]
	v_mul_f64 v[76:77], v[12:13], s[18:19]
	v_add_f64 v[6:7], v[46:47], v[6:7]
	v_accvgpr_read_b32 v12, a172
	v_accvgpr_read_b32 v16, a162
	v_add_f64 v[20:21], v[20:21], -v[24:25]
	v_add_f64 v[22:23], v[178:179], v[22:23]
	v_accvgpr_read_b32 v24, a140
	v_mul_f64 v[88:89], v[254:255], s[10:11]
	v_mul_f64 v[30:31], v[30:31], s[26:27]
	;; [unrolled: 1-line block ×3, first 2 shown]
	v_fmac_f64_e32 v[58:59], s[22:23], v[32:33]
	v_add_f64 v[6:7], v[50:51], v[6:7]
	v_accvgpr_read_b32 v13, a173
	v_accvgpr_read_b32 v14, a168
	;; [unrolled: 1-line block ×3, first 2 shown]
	v_add_f64 v[18:19], v[18:19], v[22:23]
	v_accvgpr_read_b32 v22, a142
	v_accvgpr_read_b32 v25, a141
	v_add_f64 v[26:27], v[82:83], v[26:27]
	v_mul_f64 v[82:83], v[52:53], s[14:15]
	v_mul_f64 v[38:39], v[38:39], s[30:31]
	v_fmac_f64_e32 v[66:67], s[16:17], v[40:41]
	v_add_f64 v[6:7], v[58:59], v[6:7]
	v_add_f64 v[4:5], v[12:13], -v[4:5]
	v_accvgpr_read_b32 v12, a170
	v_accvgpr_read_b32 v15, a169
	v_add_f64 v[16:17], v[16:17], -v[30:31]
	v_add_f64 v[18:19], v[20:21], v[18:19]
	v_accvgpr_read_b32 v20, a144
	v_accvgpr_read_b32 v23, a143
	v_add_f64 v[24:25], v[88:89], v[24:25]
	v_mul_f64 v[98:99], v[8:9], s[16:17]
	v_mul_f64 v[42:43], v[42:43], s[36:37]
	v_add_f64 v[6:7], v[66:67], v[6:7]
	v_accvgpr_read_b32 v13, a171
	v_add_f64 v[14:15], v[14:15], -v[38:39]
	v_add_f64 v[16:17], v[16:17], v[18:19]
	v_accvgpr_read_b32 v18, a148
	v_accvgpr_read_b32 v21, a145
	v_add_f64 v[22:23], v[82:83], v[22:23]
	v_add_f64 v[24:25], v[176:177], v[24:25]
	;; [unrolled: 1-line block ×3, first 2 shown]
	v_accvgpr_read_b32 v6, a138
	v_add_f64 v[12:13], v[12:13], -v[42:43]
	v_add_f64 v[14:15], v[14:15], v[16:17]
	v_accvgpr_read_b32 v16, a150
	v_accvgpr_read_b32 v19, a149
	v_add_f64 v[20:21], v[98:99], v[20:21]
	v_add_f64 v[22:23], v[22:23], v[24:25]
	v_mul_f64 v[56:57], v[56:57], s[44:45]
	v_accvgpr_read_b32 v7, a139
	v_add_f64 v[12:13], v[12:13], v[14:15]
	v_accvgpr_read_b32 v14, a164
	v_accvgpr_read_b32 v17, a151
	v_add_f64 v[18:19], v[76:77], v[18:19]
	v_add_f64 v[20:21], v[20:21], v[22:23]
	v_fma_f64 v[44:45], v[44:45], s[22:23], -v[86:87]
	v_mul_f64 v[86:87], v[32:33], s[28:29]
	v_add_f64 v[6:7], v[6:7], -v[56:57]
	v_add_f64 v[4:5], v[4:5], v[12:13]
	v_accvgpr_read_b32 v12, a166
	v_accvgpr_read_b32 v15, a165
	v_add_f64 v[16:17], v[80:81], v[16:17]
	v_add_f64 v[18:19], v[18:19], v[20:21]
	v_fma_f64 v[34:35], v[34:35], s[34:35], -v[90:91]
	v_mul_f64 v[90:91], v[40:41], s[34:35]
	v_add_f64 v[6:7], v[6:7], v[4:5]
	v_accvgpr_read_b32 v4, a158
	v_accvgpr_read_b32 v13, a167
	v_add_f64 v[14:15], v[86:87], v[14:15]
	v_add_f64 v[16:17], v[16:17], v[18:19]
	v_accvgpr_read_b32 v5, a159
	v_add_f64 v[12:13], v[90:91], v[12:13]
	v_add_f64 v[14:15], v[14:15], v[16:17]
	v_add_f64 v[4:5], v[92:93], v[4:5]
	v_add_f64 v[12:13], v[12:13], v[14:15]
	v_add_f64 v[4:5], v[4:5], v[12:13]
	v_add_f64 v[12:13], v[178:179], v[186:187]
	v_add_f64 v[12:13], v[190:191], v[12:13]
	v_add_f64 v[12:13], v[198:199], v[12:13]
	v_add_f64 v[12:13], v[182:183], v[12:13]
	v_add_f64 v[12:13], v[194:195], v[12:13]
	v_add_f64 v[12:13], v[202:203], v[12:13]
	v_add_f64 v[12:13], v[206:207], v[12:13]
	v_add_f64 v[12:13], v[210:211], v[12:13]
	v_add_f64 v[12:13], v[214:215], v[12:13]
	v_add_f64 v[12:13], v[222:223], v[12:13]
	v_add_f64 v[12:13], v[230:231], v[12:13]
	v_add_f64 v[12:13], v[218:219], v[12:13]
	v_add_f64 v[12:13], v[226:227], v[12:13]
	v_add_f64 v[12:13], v[234:235], v[12:13]
	v_add_f64 v[12:13], v[238:239], v[12:13]
	v_add_f64 v[14:15], v[174:175], v[12:13]
	v_add_f64 v[12:13], v[176:177], v[184:185]
	v_add_f64 v[12:13], v[188:189], v[12:13]
	v_add_f64 v[12:13], v[196:197], v[12:13]
	v_add_f64 v[12:13], v[180:181], v[12:13]
	v_add_f64 v[12:13], v[192:193], v[12:13]
	v_add_f64 v[12:13], v[200:201], v[12:13]
	v_add_f64 v[12:13], v[204:205], v[12:13]
	v_add_f64 v[12:13], v[208:209], v[12:13]
	v_add_f64 v[12:13], v[212:213], v[12:13]
	v_add_f64 v[12:13], v[220:221], v[12:13]
	v_add_f64 v[12:13], v[228:229], v[12:13]
	v_add_f64 v[12:13], v[216:217], v[12:13]
	v_add_f64 v[12:13], v[224:225], v[12:13]
	v_accvgpr_read_b32 v17, a129            ;  Reload Reuse
	v_add_f64 v[10:11], v[34:35], v[10:11]
	v_add_f64 v[12:13], v[232:233], v[12:13]
	v_accvgpr_read_b32 v16, a190            ;  Reload Reuse
	v_add_f64 v[10:11], v[44:45], v[10:11]
	v_add_f64 v[12:13], v[236:237], v[12:13]
	v_mul_lo_u16_e32 v16, 17, v16
	v_add_f64 v[10:11], v[48:49], v[10:11]
	v_add_f64 v[12:13], v[172:173], v[12:13]
	v_lshlrev_b32_e32 v16, 4, v16
	v_add_f64 v[72:73], v[106:107], v[72:73]
	v_accvgpr_read_b32 v103, a71
	v_add_f64 v[10:11], v[64:65], v[10:11]
	v_accvgpr_read_b32 v99, a63
	ds_write_b128 v16, v[12:15]
	ds_write_b128 v16, v[4:7] offset:16
	ds_write_b128 v16, v[8:11] offset:32
	;; [unrolled: 1-line block ×4, first 2 shown]
	v_accvgpr_read_b32 v245, a129           ;  Reload Reuse
	ds_write_b128 v16, v[60:63] offset:80
	ds_write_b128 v16, a[182:185] offset:96
	;; [unrolled: 1-line block ×10, first 2 shown]
	v_accvgpr_read_b32 v251, a5
	v_accvgpr_read_b32 v102, a70
	;; [unrolled: 1-line block ×7, first 2 shown]
	v_mov_b32_e32 v247, v253
	v_accvgpr_read_b32 v246, a0
	v_accvgpr_read_b32 v244, a190           ;  Reload Reuse
	v_accvgpr_read_b32 v245, a124
	v_accvgpr_read_b32 v250, a4
	;; [unrolled: 1-line block ×4, first 2 shown]
	ds_write_b128 v16, v[26:29] offset:240
	ds_write_b128 v16, v[240:243] offset:256
.LBB0_17:
	s_or_b64 exec, exec, s[2:3]
	v_accvgpr_read_b32 v69, a9
	v_accvgpr_read_b32 v68, a8
	s_waitcnt lgkmcnt(0)
	s_barrier
	ds_read_b128 v[0:3], v70
	ds_read_b128 v[4:7], v70 offset:1632
	ds_read_b128 v[8:11], v70 offset:13056
	ds_read_b128 v[12:15], v70 offset:14688
	ds_read_b128 v[16:19], v70 offset:3264
	ds_read_b128 v[20:23], v70 offset:4896
	ds_read_b128 v[24:27], v70 offset:16320
	ds_read_b128 v[28:31], v70 offset:17952
	ds_read_b128 v[32:35], v70 offset:6528
	ds_read_b128 v[36:39], v70 offset:8160
	ds_read_b128 v[40:43], v70 offset:19584
	ds_read_b128 v[44:47], v70 offset:21216
	ds_read_b128 v[48:51], v70 offset:9792
	ds_read_b128 v[52:55], v70 offset:11424
	ds_read_b128 v[56:59], v70 offset:22848
	ds_read_b128 v[60:63], v70 offset:24480
	v_accvgpr_read_b32 v67, a7
	v_accvgpr_read_b32 v66, a6
	s_waitcnt lgkmcnt(13)
	v_mul_f64 v[64:65], v[68:69], v[10:11]
	v_fmac_f64_e32 v[64:65], v[66:67], v[8:9]
	v_mul_f64 v[8:9], v[68:69], v[8:9]
	v_accvgpr_read_b32 v75, a17
	v_fma_f64 v[10:11], v[66:67], v[10:11], -v[8:9]
	s_waitcnt lgkmcnt(12)
	v_mul_f64 v[8:9], v[250:251], v[12:13]
	v_accvgpr_read_b32 v74, a16
	v_mul_f64 v[66:67], v[250:251], v[14:15]
	v_fma_f64 v[14:15], v[248:249], v[14:15], -v[8:9]
	s_waitcnt lgkmcnt(9)
	v_mul_f64 v[68:69], v[74:75], v[26:27]
	v_mul_f64 v[8:9], v[74:75], v[24:25]
	v_accvgpr_read_b32 v77, a13
	v_accvgpr_read_b32 v73, a15
	v_accvgpr_read_b32 v72, a14
	v_accvgpr_read_b32 v76, a12
	v_fmac_f64_e32 v[68:69], v[72:73], v[24:25]
	v_fma_f64 v[26:27], v[72:73], v[26:27], -v[8:9]
	s_waitcnt lgkmcnt(8)
	v_mul_f64 v[72:73], v[76:77], v[30:31]
	v_mul_f64 v[8:9], v[76:77], v[28:29]
	v_accvgpr_read_b32 v79, a25
	v_accvgpr_read_b32 v75, a11
	v_accvgpr_read_b32 v74, a10
	v_accvgpr_read_b32 v78, a24
	v_fmac_f64_e32 v[72:73], v[74:75], v[28:29]
	;; [unrolled: 9-line block ×4, first 2 shown]
	v_fma_f64 v[46:47], v[78:79], v[46:47], -v[8:9]
	s_waitcnt lgkmcnt(1)
	v_mul_f64 v[78:79], v[82:83], v[58:59]
	v_mul_f64 v[8:9], v[82:83], v[56:57]
	v_accvgpr_read_b32 v85, a29
	v_accvgpr_read_b32 v81, a31
	;; [unrolled: 1-line block ×4, first 2 shown]
	v_fma_f64 v[58:59], v[80:81], v[58:59], -v[8:9]
	v_accvgpr_read_b32 v83, a27
	v_accvgpr_read_b32 v82, a26
	s_waitcnt lgkmcnt(0)
	v_mul_f64 v[8:9], v[84:85], v[60:61]
	v_fmac_f64_e32 v[66:67], v[248:249], v[12:13]
	v_fmac_f64_e32 v[78:79], v[80:81], v[56:57]
	v_mul_f64 v[80:81], v[84:85], v[62:63]
	v_fma_f64 v[62:63], v[82:83], v[62:63], -v[8:9]
	v_add_f64 v[8:9], v[0:1], -v[64:65]
	v_add_f64 v[10:11], v[2:3], -v[10:11]
	v_fma_f64 v[0:1], v[0:1], 2.0, -v[8:9]
	v_fma_f64 v[2:3], v[2:3], 2.0, -v[10:11]
	v_add_f64 v[12:13], v[4:5], -v[66:67]
	v_add_f64 v[14:15], v[6:7], -v[14:15]
	v_fma_f64 v[4:5], v[4:5], 2.0, -v[12:13]
	v_fma_f64 v[6:7], v[6:7], 2.0, -v[14:15]
	v_add_f64 v[24:25], v[16:17], -v[68:69]
	v_add_f64 v[26:27], v[18:19], -v[26:27]
	s_barrier
	ds_write_b128 v247, v[0:3]
	ds_write_b128 v247, v[8:11] offset:272
	v_accvgpr_read_b32 v0, a1
	v_fma_f64 v[16:17], v[16:17], 2.0, -v[24:25]
	v_fma_f64 v[18:19], v[18:19], 2.0, -v[26:27]
	v_add_f64 v[28:29], v[20:21], -v[72:73]
	v_add_f64 v[30:31], v[22:23], -v[30:31]
	ds_write_b128 v0, v[4:7]
	ds_write_b128 v0, v[12:15] offset:272
	v_accvgpr_read_b32 v0, a34
	v_fma_f64 v[20:21], v[20:21], 2.0, -v[28:29]
	v_fma_f64 v[22:23], v[22:23], 2.0, -v[30:31]
	v_add_f64 v[40:41], v[32:33], -v[74:75]
	v_add_f64 v[42:43], v[34:35], -v[42:43]
	;; [unrolled: 7-line block ×3, first 2 shown]
	ds_write_b128 v0, v[20:23]
	ds_write_b128 v0, v[28:31] offset:272
	v_accvgpr_read_b32 v0, a36
	v_fmac_f64_e32 v[80:81], v[82:83], v[60:61]
	v_fma_f64 v[36:37], v[36:37], 2.0, -v[44:45]
	v_fma_f64 v[38:39], v[38:39], 2.0, -v[46:47]
	v_add_f64 v[56:57], v[48:49], -v[78:79]
	v_add_f64 v[58:59], v[50:51], -v[58:59]
	ds_write_b128 v0, v[32:35]
	ds_write_b128 v0, v[40:43] offset:272
	v_accvgpr_read_b32 v0, a37
	v_fma_f64 v[48:49], v[48:49], 2.0, -v[56:57]
	v_fma_f64 v[50:51], v[50:51], 2.0, -v[58:59]
	v_add_f64 v[60:61], v[52:53], -v[80:81]
	v_add_f64 v[62:63], v[54:55], -v[62:63]
	ds_write_b128 v0, v[36:39]
	ds_write_b128 v0, v[44:47] offset:272
	v_accvgpr_read_b32 v0, a38
	v_accvgpr_read_b32 v69, a47
	v_fma_f64 v[52:53], v[52:53], 2.0, -v[60:61]
	v_fma_f64 v[54:55], v[54:55], 2.0, -v[62:63]
	ds_write_b128 v0, v[48:51]
	ds_write_b128 v0, v[56:59] offset:272
	v_accvgpr_read_b32 v0, a39
	v_accvgpr_read_b32 v68, a46
	ds_write_b128 v0, v[52:55]
	ds_write_b128 v0, v[60:63] offset:272
	s_waitcnt lgkmcnt(0)
	s_barrier
	ds_read_b128 v[0:3], v70
	ds_read_b128 v[4:7], v70 offset:1632
	ds_read_b128 v[8:11], v70 offset:13056
	;; [unrolled: 1-line block ×15, first 2 shown]
	v_accvgpr_read_b32 v67, a45
	v_accvgpr_read_b32 v66, a44
	s_waitcnt lgkmcnt(13)
	v_mul_f64 v[64:65], v[68:69], v[10:11]
	v_accvgpr_read_b32 v75, a43
	v_fmac_f64_e32 v[64:65], v[66:67], v[8:9]
	v_mul_f64 v[8:9], v[68:69], v[8:9]
	v_accvgpr_read_b32 v74, a42
	v_fma_f64 v[10:11], v[66:67], v[10:11], -v[8:9]
	v_accvgpr_read_b32 v73, a41
	v_accvgpr_read_b32 v72, a40
	s_waitcnt lgkmcnt(12)
	v_mul_f64 v[66:67], v[74:75], v[14:15]
	v_mul_f64 v[8:9], v[74:75], v[12:13]
	v_fmac_f64_e32 v[66:67], v[72:73], v[12:13]
	v_fma_f64 v[68:69], v[72:73], v[14:15], -v[8:9]
	v_accvgpr_read_b32 v12, a52
	v_accvgpr_read_b32 v14, a54
	v_accvgpr_read_b32 v15, a55
	v_accvgpr_read_b32 v13, a53
	s_waitcnt lgkmcnt(9)
	v_mul_f64 v[72:73], v[14:15], v[26:27]
	v_mul_f64 v[8:9], v[14:15], v[24:25]
	v_fmac_f64_e32 v[72:73], v[12:13], v[24:25]
	v_fma_f64 v[74:75], v[12:13], v[26:27], -v[8:9]
	v_accvgpr_read_b32 v12, a48
	v_accvgpr_read_b32 v14, a50
	;; [unrolled: 9-line block ×6, first 2 shown]
	v_accvgpr_read_b32 v15, a75
	v_accvgpr_read_b32 v13, a73
	s_waitcnt lgkmcnt(0)
	v_mul_f64 v[8:9], v[14:15], v[60:61]
	v_mul_f64 v[92:93], v[14:15], v[62:63]
	v_fma_f64 v[94:95], v[12:13], v[62:63], -v[8:9]
	v_add_f64 v[8:9], v[0:1], -v[64:65]
	v_add_f64 v[10:11], v[2:3], -v[10:11]
	v_fmac_f64_e32 v[92:93], v[12:13], v[60:61]
	v_fma_f64 v[12:13], v[0:1], 2.0, -v[8:9]
	v_fma_f64 v[14:15], v[2:3], 2.0, -v[10:11]
	v_add_f64 v[24:25], v[4:5], -v[66:67]
	v_add_f64 v[26:27], v[6:7], -v[68:69]
	v_accvgpr_read_b32 v64, a80
	v_fma_f64 v[4:5], v[4:5], 2.0, -v[24:25]
	v_fma_f64 v[6:7], v[6:7], 2.0, -v[26:27]
	v_add_f64 v[28:29], v[16:17], -v[72:73]
	v_add_f64 v[30:31], v[18:19], -v[74:75]
	s_barrier
	ds_write_b128 v64, v[12:15]
	ds_write_b128 v64, v[8:11] offset:544
	v_accvgpr_read_b32 v8, a81
	v_fma_f64 v[16:17], v[16:17], 2.0, -v[28:29]
	v_fma_f64 v[18:19], v[18:19], 2.0, -v[30:31]
	v_add_f64 v[40:41], v[20:21], -v[76:77]
	v_add_f64 v[42:43], v[22:23], -v[78:79]
	ds_write_b128 v8, v[4:7]
	ds_write_b128 v8, v[24:27] offset:544
	v_accvgpr_read_b32 v4, a82
	v_fma_f64 v[20:21], v[20:21], 2.0, -v[40:41]
	v_fma_f64 v[22:23], v[22:23], 2.0, -v[42:43]
	v_add_f64 v[44:45], v[32:33], -v[80:81]
	v_add_f64 v[46:47], v[34:35], -v[82:83]
	;; [unrolled: 7-line block ×5, first 2 shown]
	ds_write_b128 v4, v[36:39]
	ds_write_b128 v4, v[56:59] offset:544
	v_accvgpr_read_b32 v4, a86
	v_fma_f64 v[52:53], v[52:53], 2.0, -v[0:1]
	v_fma_f64 v[54:55], v[54:55], 2.0, -v[2:3]
	ds_write_b128 v4, v[48:51]
	ds_write_b128 v4, v[60:63] offset:544
	v_accvgpr_read_b32 v4, a87
	ds_write_b128 v4, v[52:55]
	ds_write_b128 v4, v[0:3] offset:544
	s_waitcnt lgkmcnt(0)
	s_barrier
	ds_read_b128 v[20:23], v70
	ds_read_b128 v[16:19], v70 offset:1632
	ds_read_b128 v[56:59], v70 offset:17408
	;; [unrolled: 1-line block ×14, first 2 shown]
	s_and_saveexec_b64 s[2:3], s[0:1]
	s_cbranch_execz .LBB0_19
; %bb.18:
	ds_read_b128 v[0:3], v70 offset:8160
	ds_read_b128 v[240:243], v70 offset:16864
	;; [unrolled: 1-line block ×3, first 2 shown]
.LBB0_19:
	s_or_b64 exec, exec, s[2:3]
	v_accvgpr_read_b32 v66, a92
	v_accvgpr_read_b32 v68, a94
	;; [unrolled: 1-line block ×4, first 2 shown]
	s_waitcnt lgkmcnt(4)
	v_mul_f64 v[64:65], v[68:69], v[62:63]
	v_fmac_f64_e32 v[64:65], v[66:67], v[60:61]
	v_mul_f64 v[60:61], v[68:69], v[60:61]
	v_fma_f64 v[60:61], v[66:67], v[62:63], -v[60:61]
	v_accvgpr_read_b32 v66, a88
	v_accvgpr_read_b32 v68, a90
	v_accvgpr_read_b32 v69, a91
	v_accvgpr_read_b32 v67, a89
	v_mul_f64 v[62:63], v[68:69], v[58:59]
	v_fmac_f64_e32 v[62:63], v[66:67], v[56:57]
	v_mul_f64 v[56:57], v[68:69], v[56:57]
	v_fma_f64 v[56:57], v[66:67], v[58:59], -v[56:57]
	v_accvgpr_read_b32 v66, a116
	v_accvgpr_read_b32 v68, a118
	v_accvgpr_read_b32 v69, a119
	v_accvgpr_read_b32 v67, a117
	;; [unrolled: 8-line block ×4, first 2 shown]
	v_mul_f64 v[50:51], v[68:69], v[46:47]
	v_accvgpr_read_b32 v72, a96
	v_fmac_f64_e32 v[50:51], v[66:67], v[44:45]
	v_mul_f64 v[44:45], v[68:69], v[44:45]
	v_accvgpr_read_b32 v74, a98
	v_accvgpr_read_b32 v75, a99
	v_fma_f64 v[46:47], v[66:67], v[46:47], -v[44:45]
	v_accvgpr_read_b32 v73, a97
	v_mul_f64 v[66:67], v[74:75], v[38:39]
	s_waitcnt lgkmcnt(1)
	v_mul_f64 v[80:81], v[110:111], v[30:31]
	v_fmac_f64_e32 v[66:67], v[72:73], v[36:37]
	v_mul_f64 v[36:37], v[74:75], v[36:37]
	v_accvgpr_read_b32 v74, a108
	v_fmac_f64_e32 v[80:81], v[108:109], v[28:29]
	v_mul_f64 v[28:29], v[110:111], v[28:29]
	v_accvgpr_read_b32 v76, a110
	v_accvgpr_read_b32 v77, a111
	v_fma_f64 v[82:83], v[108:109], v[30:31], -v[28:29]
	v_accvgpr_read_b32 v28, a120
	v_fma_f64 v[68:69], v[72:73], v[38:39], -v[36:37]
	v_accvgpr_read_b32 v75, a109
	v_mul_f64 v[72:73], v[76:77], v[42:43]
	v_mul_f64 v[36:37], v[76:77], v[40:41]
	v_accvgpr_read_b32 v30, a122
	v_accvgpr_read_b32 v31, a123
	v_fmac_f64_e32 v[72:73], v[74:75], v[40:41]
	v_fma_f64 v[74:75], v[74:75], v[42:43], -v[36:37]
	v_accvgpr_read_b32 v36, a104
	v_accvgpr_read_b32 v29, a121
	s_waitcnt lgkmcnt(0)
	v_mul_f64 v[84:85], v[30:31], v[26:27]
	v_accvgpr_read_b32 v38, a106
	v_accvgpr_read_b32 v39, a107
	v_fmac_f64_e32 v[84:85], v[28:29], v[24:25]
	v_mul_f64 v[24:25], v[30:31], v[24:25]
	v_accvgpr_read_b32 v37, a105
	v_mul_f64 v[76:77], v[38:39], v[34:35]
	v_fma_f64 v[86:87], v[28:29], v[26:27], -v[24:25]
	v_add_f64 v[26:27], v[64:65], v[62:63]
	s_mov_b32 s2, 0xe8584caa
	v_fmac_f64_e32 v[76:77], v[36:37], v[32:33]
	v_mul_f64 v[32:33], v[38:39], v[32:33]
	v_add_f64 v[24:25], v[20:21], v[64:65]
	v_fmac_f64_e32 v[20:21], -0.5, v[26:27]
	v_add_f64 v[26:27], v[60:61], -v[56:57]
	s_mov_b32 s3, 0xbfebb67a
	s_mov_b32 s11, 0x3febb67a
	;; [unrolled: 1-line block ×3, first 2 shown]
	v_add_f64 v[30:31], v[60:61], v[56:57]
	v_fma_f64 v[78:79], v[36:37], v[34:35], -v[32:33]
	v_fma_f64 v[28:29], s[2:3], v[26:27], v[20:21]
	v_fmac_f64_e32 v[20:21], s[10:11], v[26:27]
	v_add_f64 v[26:27], v[22:23], v[60:61]
	v_fmac_f64_e32 v[22:23], -0.5, v[30:31]
	v_add_f64 v[32:33], v[64:65], -v[62:63]
	v_add_f64 v[34:35], v[58:59], v[54:55]
	v_fma_f64 v[30:31], s[10:11], v[32:33], v[22:23]
	v_fmac_f64_e32 v[22:23], s[2:3], v[32:33]
	v_add_f64 v[32:33], v[16:17], v[58:59]
	v_fmac_f64_e32 v[16:17], -0.5, v[34:35]
	v_add_f64 v[34:35], v[52:53], -v[48:49]
	v_add_f64 v[38:39], v[52:53], v[48:49]
	;; [unrolled: 6-line block ×3, first 2 shown]
	v_fma_f64 v[38:39], s[10:11], v[40:41], v[18:19]
	v_fmac_f64_e32 v[18:19], s[2:3], v[40:41]
	v_add_f64 v[40:41], v[12:13], v[50:51]
	v_fmac_f64_e32 v[12:13], -0.5, v[42:43]
	v_add_f64 v[42:43], v[46:47], -v[68:69]
	v_fma_f64 v[44:45], s[2:3], v[42:43], v[12:13]
	v_fmac_f64_e32 v[12:13], s[10:11], v[42:43]
	v_add_f64 v[42:43], v[14:15], v[46:47]
	v_add_f64 v[46:47], v[46:47], v[68:69]
	;; [unrolled: 1-line block ×3, first 2 shown]
	v_fmac_f64_e32 v[14:15], -0.5, v[46:47]
	v_add_f64 v[48:49], v[50:51], -v[66:67]
	v_add_f64 v[50:51], v[72:73], v[76:77]
	v_add_f64 v[32:33], v[32:33], v[54:55]
	v_fma_f64 v[46:47], s[10:11], v[48:49], v[14:15]
	v_fmac_f64_e32 v[14:15], s[2:3], v[48:49]
	v_add_f64 v[48:49], v[8:9], v[72:73]
	v_fmac_f64_e32 v[8:9], -0.5, v[50:51]
	v_add_f64 v[50:51], v[74:75], -v[78:79]
	v_add_f64 v[54:55], v[74:75], v[78:79]
	v_add_f64 v[26:27], v[26:27], v[56:57]
	v_fma_f64 v[52:53], s[2:3], v[50:51], v[8:9]
	v_fmac_f64_e32 v[8:9], s[10:11], v[50:51]
	v_add_f64 v[50:51], v[10:11], v[74:75]
	;; [unrolled: 7-line block ×3, first 2 shown]
	v_fmac_f64_e32 v[4:5], -0.5, v[58:59]
	v_add_f64 v[58:59], v[82:83], -v[86:87]
	v_add_f64 v[62:63], v[82:83], v[86:87]
	v_fma_f64 v[60:61], s[2:3], v[58:59], v[4:5]
	v_fmac_f64_e32 v[4:5], s[10:11], v[58:59]
	v_add_f64 v[58:59], v[6:7], v[82:83]
	v_fmac_f64_e32 v[6:7], -0.5, v[62:63]
	v_add_f64 v[64:65], v[80:81], -v[84:85]
	v_fma_f64 v[62:63], s[10:11], v[64:65], v[6:7]
	v_fmac_f64_e32 v[6:7], s[2:3], v[64:65]
	v_accvgpr_read_b32 v64, a125
	s_barrier
	ds_write_b128 v64, v[24:27]
	ds_write_b128 v64, v[28:31] offset:1088
	ds_write_b128 v64, v[20:23] offset:2176
	v_accvgpr_read_b32 v20, a126
	v_add_f64 v[40:41], v[40:41], v[66:67]
	v_add_f64 v[42:43], v[42:43], v[68:69]
	ds_write_b128 v20, v[32:35]
	ds_write_b128 v20, v[36:39] offset:1088
	ds_write_b128 v20, v[16:19] offset:2176
	v_accvgpr_read_b32 v16, a127
	v_add_f64 v[48:49], v[48:49], v[76:77]
	v_add_f64 v[50:51], v[50:51], v[78:79]
	;; [unrolled: 6-line block ×3, first 2 shown]
	ds_write_b128 v12, v[48:51]
	ds_write_b128 v12, v[52:55] offset:1088
	ds_write_b128 v12, v[8:11] offset:2176
	ds_write_b128 v71, v[56:59]
	ds_write_b128 v71, v[60:63] offset:1088
	ds_write_b128 v71, v[4:7] offset:2176
	s_and_saveexec_b64 s[14:15], s[0:1]
	s_cbranch_execz .LBB0_21
; %bb.20:
	v_mul_f64 v[4:5], v[102:103], v[240:241]
	v_fma_f64 v[6:7], v[100:101], v[242:243], -v[4:5]
	v_mul_f64 v[4:5], v[98:99], v[112:113]
	v_fma_f64 v[10:11], v[96:97], v[114:115], -v[4:5]
	v_mul_f64 v[14:15], v[102:103], v[242:243]
	v_mul_f64 v[16:17], v[98:99], v[114:115]
	v_add_f64 v[4:5], v[6:7], v[10:11]
	v_fmac_f64_e32 v[14:15], v[100:101], v[240:241]
	v_fmac_f64_e32 v[16:17], v[96:97], v[112:113]
	v_fma_f64 v[4:5], -0.5, v[4:5], v[2:3]
	v_add_f64 v[12:13], v[14:15], -v[16:17]
	v_add_f64 v[2:3], v[2:3], v[6:7]
	v_fma_f64 v[8:9], s[2:3], v[12:13], v[4:5]
	v_fmac_f64_e32 v[4:5], s[10:11], v[12:13]
	v_add_f64 v[12:13], v[2:3], v[10:11]
	v_add_f64 v[2:3], v[14:15], v[16:17]
	v_fma_f64 v[2:3], -0.5, v[2:3], v[0:1]
	v_add_f64 v[10:11], v[6:7], -v[10:11]
	v_add_f64 v[0:1], v[0:1], v[14:15]
	v_fma_f64 v[6:7], s[10:11], v[10:11], v[2:3]
	v_fmac_f64_e32 v[2:3], s[2:3], v[10:11]
	v_add_f64 v[10:11], v[0:1], v[16:17]
	ds_write_b128 v245, v[10:13] offset:22848
	ds_write_b128 v245, v[2:5] offset:23936
	;; [unrolled: 1-line block ×3, first 2 shown]
.LBB0_21:
	s_or_b64 exec, exec, s[14:15]
	s_waitcnt lgkmcnt(0)
	s_barrier
	ds_read_b128 v[0:3], v70
	ds_read_b128 v[4:7], v70 offset:1632
	ds_read_b128 v[8:11], v70 offset:3264
	;; [unrolled: 1-line block ×15, first 2 shown]
	s_waitcnt lgkmcnt(13)
	v_mul_f64 v[64:65], v[138:139], v[10:11]
	v_fmac_f64_e32 v[64:65], v[136:137], v[8:9]
	v_mul_f64 v[8:9], v[138:139], v[8:9]
	v_fma_f64 v[8:9], v[136:137], v[10:11], -v[8:9]
	s_waitcnt lgkmcnt(11)
	v_mul_f64 v[10:11], v[126:127], v[18:19]
	v_fmac_f64_e32 v[10:11], v[124:125], v[16:17]
	v_mul_f64 v[16:17], v[126:127], v[16:17]
	v_fma_f64 v[16:17], v[124:125], v[18:19], -v[16:17]
	;; [unrolled: 5-line block ×7, first 2 shown]
	v_mul_f64 v[58:59], v[166:167], v[14:15]
	v_fmac_f64_e32 v[58:59], v[164:165], v[12:13]
	v_mul_f64 v[12:13], v[166:167], v[12:13]
	v_fma_f64 v[66:67], v[164:165], v[14:15], -v[12:13]
	v_mul_f64 v[12:13], v[154:155], v[20:21]
	v_fma_f64 v[72:73], v[152:153], v[22:23], -v[12:13]
	;; [unrolled: 2-line block ×3, first 2 shown]
	v_mul_f64 v[78:79], v[146:147], v[38:39]
	v_mul_f64 v[12:13], v[146:147], v[36:37]
	v_fmac_f64_e32 v[78:79], v[144:145], v[36:37]
	v_fma_f64 v[36:37], v[144:145], v[38:39], -v[12:13]
	v_mul_f64 v[38:39], v[170:171], v[46:47]
	v_mul_f64 v[12:13], v[170:171], v[44:45]
	v_fmac_f64_e32 v[38:39], v[168:169], v[44:45]
	v_fma_f64 v[44:45], v[168:169], v[46:47], -v[12:13]
	v_mul_f64 v[46:47], v[162:163], v[54:55]
	v_mul_f64 v[12:13], v[162:163], v[52:53]
	;; [unrolled: 1-line block ×4, first 2 shown]
	v_fmac_f64_e32 v[46:47], v[160:161], v[52:53]
	v_fma_f64 v[52:53], v[160:161], v[54:55], -v[12:13]
	s_waitcnt lgkmcnt(0)
	v_mul_f64 v[54:55], v[158:159], v[62:63]
	v_mul_f64 v[12:13], v[158:159], v[60:61]
	v_fmac_f64_e32 v[68:69], v[152:153], v[20:21]
	v_fmac_f64_e32 v[74:75], v[148:149], v[28:29]
	;; [unrolled: 1-line block ×3, first 2 shown]
	v_fma_f64 v[60:61], v[156:157], v[62:63], -v[12:13]
	v_add_f64 v[12:13], v[0:1], -v[26:27]
	v_add_f64 v[14:15], v[2:3], -v[32:33]
	;; [unrolled: 1-line block ×8, first 2 shown]
	v_fma_f64 v[0:1], v[0:1], 2.0, -v[12:13]
	v_fma_f64 v[2:3], v[2:3], 2.0, -v[14:15]
	;; [unrolled: 1-line block ×8, first 2 shown]
	v_add_f64 v[48:49], v[12:13], v[22:23]
	v_add_f64 v[50:51], v[14:15], -v[20:21]
	v_add_f64 v[34:35], v[26:27], v[34:35]
	v_add_f64 v[32:33], v[28:29], -v[32:33]
	s_mov_b32 s0, 0x667f3bcd
	v_add_f64 v[40:41], v[0:1], -v[10:11]
	v_add_f64 v[42:43], v[2:3], -v[16:17]
	v_fma_f64 v[20:21], v[12:13], 2.0, -v[48:49]
	v_fma_f64 v[22:23], v[14:15], 2.0, -v[50:51]
	v_add_f64 v[56:57], v[30:31], -v[18:19]
	v_add_f64 v[24:25], v[8:9], -v[24:25]
	v_fma_f64 v[18:19], v[26:27], 2.0, -v[34:35]
	v_fma_f64 v[26:27], v[28:29], 2.0, -v[32:33]
	s_mov_b32 s1, 0xbfe6a09e
	v_fma_f64 v[10:11], v[0:1], 2.0, -v[40:41]
	v_fma_f64 v[16:17], v[2:3], 2.0, -v[42:43]
	;; [unrolled: 1-line block ×4, first 2 shown]
	v_fma_f64 v[12:13], s[0:1], v[18:19], v[20:21]
	v_fma_f64 v[14:15], s[0:1], v[26:27], v[22:23]
	s_mov_b32 s3, 0x3fe6a09e
	s_mov_b32 s2, s0
	v_add_f64 v[0:1], v[10:11], -v[0:1]
	v_add_f64 v[2:3], v[16:17], -v[2:3]
	v_fmac_f64_e32 v[12:13], s[2:3], v[26:27]
	v_fmac_f64_e32 v[14:15], s[0:1], v[18:19]
	v_fma_f64 v[8:9], v[10:11], 2.0, -v[0:1]
	v_fma_f64 v[10:11], v[16:17], 2.0, -v[2:3]
	;; [unrolled: 1-line block ×4, first 2 shown]
	v_add_f64 v[20:21], v[40:41], v[24:25]
	v_add_f64 v[22:23], v[42:43], -v[56:57]
	v_fma_f64 v[28:29], s[2:3], v[34:35], v[48:49]
	v_fma_f64 v[30:31], s[2:3], v[32:33], v[50:51]
	v_add_f64 v[38:39], v[58:59], -v[38:39]
	v_fma_f64 v[24:25], v[40:41], 2.0, -v[20:21]
	v_fma_f64 v[26:27], v[42:43], 2.0, -v[22:23]
	v_fmac_f64_e32 v[28:29], s[2:3], v[32:33]
	v_fmac_f64_e32 v[30:31], s[0:1], v[34:35]
	v_add_f64 v[40:41], v[4:5], -v[78:79]
	v_add_f64 v[36:37], v[6:7], -v[36:37]
	v_add_f64 v[42:43], v[68:69], -v[46:47]
	v_add_f64 v[46:47], v[72:73], -v[52:53]
	v_add_f64 v[44:45], v[66:67], -v[44:45]
	v_fma_f64 v[52:53], v[58:59], 2.0, -v[38:39]
	v_add_f64 v[54:55], v[74:75], -v[54:55]
	v_add_f64 v[58:59], v[76:77], -v[60:61]
	v_fma_f64 v[32:33], v[48:49], 2.0, -v[28:29]
	v_fma_f64 v[34:35], v[50:51], 2.0, -v[30:31]
	;; [unrolled: 1-line block ×9, first 2 shown]
	v_add_f64 v[64:65], v[4:5], -v[48:49]
	v_add_f64 v[66:67], v[6:7], -v[50:51]
	v_add_f64 v[68:69], v[40:41], v[46:47]
	v_add_f64 v[72:73], v[36:37], -v[42:43]
	v_add_f64 v[60:61], v[52:53], -v[60:61]
	;; [unrolled: 1-line block ×3, first 2 shown]
	v_add_f64 v[76:77], v[38:39], v[58:59]
	v_add_f64 v[78:79], v[44:45], -v[54:55]
	v_fma_f64 v[48:49], v[4:5], 2.0, -v[64:65]
	v_fma_f64 v[50:51], v[6:7], 2.0, -v[66:67]
	;; [unrolled: 1-line block ×8, first 2 shown]
	v_add_f64 v[4:5], v[48:49], -v[4:5]
	v_add_f64 v[6:7], v[50:51], -v[6:7]
	v_fma_f64 v[40:41], s[0:1], v[52:53], v[46:47]
	v_fma_f64 v[42:43], s[0:1], v[44:45], v[74:75]
	;; [unrolled: 1-line block ×4, first 2 shown]
	v_fma_f64 v[36:37], v[48:49], 2.0, -v[4:5]
	v_fma_f64 v[38:39], v[50:51], 2.0, -v[6:7]
	v_fmac_f64_e32 v[40:41], s[2:3], v[44:45]
	v_fmac_f64_e32 v[42:43], s[0:1], v[52:53]
	v_add_f64 v[48:49], v[64:65], v[62:63]
	v_add_f64 v[50:51], v[66:67], -v[60:61]
	v_fmac_f64_e32 v[56:57], s[2:3], v[78:79]
	v_fmac_f64_e32 v[58:59], s[0:1], v[76:77]
	v_fma_f64 v[44:45], v[46:47], 2.0, -v[40:41]
	v_fma_f64 v[46:47], v[74:75], 2.0, -v[42:43]
	;; [unrolled: 1-line block ×6, first 2 shown]
	ds_write_b128 v70, v[8:11]
	ds_write_b128 v70, v[16:19] offset:3264
	ds_write_b128 v70, v[24:27] offset:6528
	ds_write_b128 v70, v[32:35] offset:9792
	ds_write_b128 v70, v[0:3] offset:13056
	ds_write_b128 v70, v[12:15] offset:16320
	ds_write_b128 v70, v[20:23] offset:19584
	ds_write_b128 v70, v[28:31] offset:22848
	ds_write_b128 v70, v[36:39] offset:1632
	ds_write_b128 v70, v[44:47] offset:4896
	ds_write_b128 v70, v[52:55] offset:8160
	ds_write_b128 v70, v[60:63] offset:11424
	ds_write_b128 v70, v[4:7] offset:14688
	ds_write_b128 v70, v[40:43] offset:17952
	ds_write_b128 v70, v[48:51] offset:21216
	ds_write_b128 v70, v[56:59] offset:24480
	s_waitcnt lgkmcnt(0)
	s_barrier
	s_and_b64 exec, exec, vcc
	s_cbranch_execz .LBB0_23
; %bb.22:
	global_load_dwordx4 v[0:3], v252, s[8:9]
	v_mad_u64_u32 v[14:15], s[0:1], s6, v246, 0
	v_mad_u64_u32 v[16:17], s[2:3], s4, v244, 0
	v_mov_b32_e32 v22, v15
	ds_read_b128 v[4:7], v70
	ds_read_b128 v[8:11], v252 offset:1536
	ds_read_b128 v[18:21], v252 offset:24576
	v_mov_b32_e32 v24, v17
	v_mad_u64_u32 v[22:23], s[2:3], s7, v246, v[22:23]
	v_mov_b32_e32 v12, s12
	v_mov_b32_e32 v13, s13
	v_mad_u64_u32 v[24:25], s[2:3], s5, v244, v[24:25]
	v_mov_b32_e32 v15, v22
	v_mov_b32_e32 v17, v24
	v_lshl_add_u64 v[12:13], v[14:15], 4, v[12:13]
	s_mov_b32 s0, 0x14141414
	v_lshl_add_u64 v[14:15], v[16:17], 4, v[12:13]
	s_mov_b32 s1, 0x3f441414
	v_mov_b32_e32 v28, 0x600
	s_mul_i32 s6, s5, 0x600
	v_mov_b32_e32 v253, 0
	v_or_b32_e32 v27, 0x180, v244
	v_mov_b32_e32 v29, 0xc00
	s_mul_i32 s7, s5, 0xc00
	s_movk_i32 s10, 0x3000
	s_waitcnt vmcnt(0) lgkmcnt(2)
	v_mul_f64 v[16:17], v[6:7], v[2:3]
	v_mul_f64 v[2:3], v[4:5], v[2:3]
	v_fmac_f64_e32 v[16:17], v[4:5], v[0:1]
	v_fma_f64 v[2:3], v[0:1], v[6:7], -v[2:3]
	v_mul_f64 v[0:1], v[16:17], s[0:1]
	v_mul_f64 v[2:3], v[2:3], s[0:1]
	global_store_dwordx4 v[14:15], v[0:3], off
	global_load_dwordx4 v[0:3], v252, s[8:9] offset:1536
	v_mad_u64_u32 v[14:15], s[2:3], s4, v28, v[14:15]
	v_add_u32_e32 v15, s6, v15
	s_movk_i32 s2, 0x1000
	v_lshl_add_u64 v[16:17], s[8:9], 0, v[252:253]
	v_add_co_u32_e32 v22, vcc, s2, v16
	s_waitcnt vmcnt(0) lgkmcnt(1)
	v_mul_f64 v[4:5], v[10:11], v[2:3]
	v_mul_f64 v[2:3], v[8:9], v[2:3]
	v_fmac_f64_e32 v[4:5], v[8:9], v[0:1]
	v_fma_f64 v[2:3], v[0:1], v[10:11], -v[2:3]
	v_mul_f64 v[0:1], v[4:5], s[0:1]
	v_mul_f64 v[2:3], v[2:3], s[0:1]
	global_store_dwordx4 v[14:15], v[0:3], off
	global_load_dwordx4 v[0:3], v252, s[8:9] offset:3072
	ds_read_b128 v[4:7], v252 offset:3072
	ds_read_b128 v[8:11], v252 offset:4608
	v_mad_u64_u32 v[14:15], s[2:3], s4, v28, v[14:15]
	v_add_u32_e32 v15, s6, v15
	v_addc_co_u32_e32 v23, vcc, 0, v17, vcc
	s_waitcnt vmcnt(0) lgkmcnt(1)
	v_mul_f64 v[24:25], v[6:7], v[2:3]
	v_mul_f64 v[2:3], v[4:5], v[2:3]
	v_fmac_f64_e32 v[24:25], v[4:5], v[0:1]
	v_fma_f64 v[2:3], v[0:1], v[6:7], -v[2:3]
	v_mul_f64 v[0:1], v[24:25], s[0:1]
	v_mul_f64 v[2:3], v[2:3], s[0:1]
	global_store_dwordx4 v[14:15], v[0:3], off
	global_load_dwordx4 v[0:3], v[22:23], off offset:512
	v_mad_u64_u32 v[14:15], s[2:3], s4, v28, v[14:15]
	v_add_u32_e32 v15, s6, v15
	v_lshlrev_b32_e32 v6, 4, v27
	v_mad_u64_u32 v[24:25], s[2:3], s4, v27, 0
	v_mov_b32_e32 v26, v25
	v_mad_u64_u32 v[26:27], s[2:3], s5, v27, v[26:27]
	v_mov_b32_e32 v25, v26
	v_lshl_add_u64 v[24:25], v[24:25], 4, v[12:13]
	s_movk_i32 s2, 0x2000
	s_waitcnt vmcnt(0) lgkmcnt(0)
	v_mul_f64 v[4:5], v[10:11], v[2:3]
	v_mul_f64 v[2:3], v[8:9], v[2:3]
	v_fmac_f64_e32 v[4:5], v[8:9], v[0:1]
	v_fma_f64 v[2:3], v[0:1], v[10:11], -v[2:3]
	v_mul_f64 v[0:1], v[4:5], s[0:1]
	v_mul_f64 v[2:3], v[2:3], s[0:1]
	global_store_dwordx4 v[14:15], v[0:3], off
	global_load_dwordx4 v[0:3], v6, s[8:9]
	ds_read_b128 v[4:7], v252 offset:6144
	ds_read_b128 v[8:11], v252 offset:7680
	s_waitcnt vmcnt(0) lgkmcnt(1)
	v_mul_f64 v[26:27], v[6:7], v[2:3]
	v_mul_f64 v[2:3], v[4:5], v[2:3]
	v_fmac_f64_e32 v[26:27], v[4:5], v[0:1]
	v_fma_f64 v[2:3], v[0:1], v[6:7], -v[2:3]
	v_mul_f64 v[0:1], v[26:27], s[0:1]
	v_mul_f64 v[2:3], v[2:3], s[0:1]
	global_store_dwordx4 v[24:25], v[0:3], off
	global_load_dwordx4 v[0:3], v[22:23], off offset:3584
	v_add_co_u32_e32 v22, vcc, s2, v16
	v_mad_u64_u32 v[14:15], s[2:3], s4, v29, v[14:15]
	v_add_u32_e32 v15, s7, v15
	v_addc_co_u32_e32 v23, vcc, 0, v17, vcc
	v_add_co_u32_e32 v26, vcc, s10, v16
	s_waitcnt vmcnt(0) lgkmcnt(0)
	v_mul_f64 v[4:5], v[10:11], v[2:3]
	v_mul_f64 v[2:3], v[8:9], v[2:3]
	v_fmac_f64_e32 v[4:5], v[8:9], v[0:1]
	v_fma_f64 v[2:3], v[0:1], v[10:11], -v[2:3]
	v_mul_f64 v[0:1], v[4:5], s[0:1]
	v_mul_f64 v[2:3], v[2:3], s[0:1]
	global_store_dwordx4 v[14:15], v[0:3], off
	global_load_dwordx4 v[0:3], v[22:23], off offset:1024
	ds_read_b128 v[4:7], v252 offset:9216
	ds_read_b128 v[8:11], v252 offset:10752
	v_mad_u64_u32 v[14:15], s[2:3], s4, v28, v[14:15]
	v_add_u32_e32 v15, s6, v15
	v_addc_co_u32_e32 v27, vcc, 0, v17, vcc
	s_waitcnt vmcnt(0) lgkmcnt(1)
	v_mul_f64 v[24:25], v[6:7], v[2:3]
	v_mul_f64 v[2:3], v[4:5], v[2:3]
	v_fmac_f64_e32 v[24:25], v[4:5], v[0:1]
	v_fma_f64 v[2:3], v[0:1], v[6:7], -v[2:3]
	v_mul_f64 v[0:1], v[24:25], s[0:1]
	v_mul_f64 v[2:3], v[2:3], s[0:1]
	global_store_dwordx4 v[14:15], v[0:3], off
	global_load_dwordx4 v[0:3], v[22:23], off offset:2560
	v_mad_u64_u32 v[14:15], s[2:3], s4, v28, v[14:15]
	v_or_b32_e32 v25, 0x300, v244
	v_add_u32_e32 v15, s6, v15
	v_lshlrev_b32_e32 v6, 4, v25
	v_mad_u64_u32 v[22:23], s[2:3], s4, v25, 0
	v_mov_b32_e32 v24, v23
	v_mad_u64_u32 v[24:25], s[2:3], s5, v25, v[24:25]
	v_mov_b32_e32 v23, v24
	v_lshl_add_u64 v[22:23], v[22:23], 4, v[12:13]
	s_waitcnt vmcnt(0) lgkmcnt(0)
	v_mul_f64 v[4:5], v[10:11], v[2:3]
	v_mul_f64 v[2:3], v[8:9], v[2:3]
	v_fmac_f64_e32 v[4:5], v[8:9], v[0:1]
	v_fma_f64 v[2:3], v[0:1], v[10:11], -v[2:3]
	v_mul_f64 v[0:1], v[4:5], s[0:1]
	v_mul_f64 v[2:3], v[2:3], s[0:1]
	global_store_dwordx4 v[14:15], v[0:3], off
	global_load_dwordx4 v[0:3], v6, s[8:9]
	ds_read_b128 v[4:7], v252 offset:12288
	ds_read_b128 v[8:11], v252 offset:13824
	v_mad_u64_u32 v[14:15], s[2:3], s4, v29, v[14:15]
	v_add_u32_e32 v15, s7, v15
	s_movk_i32 s2, 0x4000
	s_waitcnt vmcnt(0) lgkmcnt(1)
	v_mul_f64 v[24:25], v[6:7], v[2:3]
	v_mul_f64 v[2:3], v[4:5], v[2:3]
	v_fmac_f64_e32 v[24:25], v[4:5], v[0:1]
	v_fma_f64 v[2:3], v[0:1], v[6:7], -v[2:3]
	v_mul_f64 v[0:1], v[24:25], s[0:1]
	v_mul_f64 v[2:3], v[2:3], s[0:1]
	global_store_dwordx4 v[22:23], v[0:3], off
	global_load_dwordx4 v[0:3], v[26:27], off offset:1536
	v_add_co_u32_e32 v22, vcc, s2, v16
	s_waitcnt vmcnt(0) lgkmcnt(0)
	v_mul_f64 v[4:5], v[10:11], v[2:3]
	v_mul_f64 v[2:3], v[8:9], v[2:3]
	v_fmac_f64_e32 v[4:5], v[8:9], v[0:1]
	v_fma_f64 v[2:3], v[0:1], v[10:11], -v[2:3]
	v_mul_f64 v[0:1], v[4:5], s[0:1]
	v_mul_f64 v[2:3], v[2:3], s[0:1]
	global_store_dwordx4 v[14:15], v[0:3], off
	global_load_dwordx4 v[0:3], v[26:27], off offset:3072
	ds_read_b128 v[4:7], v252 offset:15360
	ds_read_b128 v[8:11], v252 offset:16896
	v_mad_u64_u32 v[14:15], s[2:3], s4, v28, v[14:15]
	v_add_u32_e32 v15, s6, v15
	v_addc_co_u32_e32 v23, vcc, 0, v17, vcc
	v_or_b32_e32 v27, 0x480, v244
	s_waitcnt vmcnt(0) lgkmcnt(1)
	v_mul_f64 v[24:25], v[6:7], v[2:3]
	v_mul_f64 v[2:3], v[4:5], v[2:3]
	v_fmac_f64_e32 v[24:25], v[4:5], v[0:1]
	v_fma_f64 v[2:3], v[0:1], v[6:7], -v[2:3]
	v_mul_f64 v[0:1], v[24:25], s[0:1]
	v_mul_f64 v[2:3], v[2:3], s[0:1]
	global_store_dwordx4 v[14:15], v[0:3], off
	global_load_dwordx4 v[0:3], v[22:23], off offset:512
	v_mad_u64_u32 v[14:15], s[2:3], s4, v28, v[14:15]
	v_add_u32_e32 v15, s6, v15
	v_lshlrev_b32_e32 v6, 4, v27
	v_mad_u64_u32 v[24:25], s[2:3], s4, v27, 0
	v_mov_b32_e32 v26, v25
	v_mad_u64_u32 v[26:27], s[2:3], s5, v27, v[26:27]
	v_mov_b32_e32 v25, v26
	v_lshl_add_u64 v[24:25], v[24:25], 4, v[12:13]
	s_movk_i32 s2, 0x5000
	v_add_co_u32_e32 v16, vcc, s2, v16
	s_waitcnt vmcnt(0) lgkmcnt(0)
	v_mul_f64 v[4:5], v[10:11], v[2:3]
	v_mul_f64 v[2:3], v[8:9], v[2:3]
	v_fmac_f64_e32 v[4:5], v[8:9], v[0:1]
	v_fma_f64 v[2:3], v[0:1], v[10:11], -v[2:3]
	v_mul_f64 v[0:1], v[4:5], s[0:1]
	v_mul_f64 v[2:3], v[2:3], s[0:1]
	global_store_dwordx4 v[14:15], v[0:3], off
	global_load_dwordx4 v[0:3], v6, s[8:9]
	ds_read_b128 v[4:7], v252 offset:18432
	ds_read_b128 v[8:11], v252 offset:19968
	v_mad_u64_u32 v[14:15], s[2:3], s4, v29, v[14:15]
	v_add_u32_e32 v15, s7, v15
	v_addc_co_u32_e32 v17, vcc, 0, v17, vcc
	s_waitcnt vmcnt(0) lgkmcnt(1)
	v_mul_f64 v[26:27], v[6:7], v[2:3]
	v_mul_f64 v[2:3], v[4:5], v[2:3]
	v_fmac_f64_e32 v[26:27], v[4:5], v[0:1]
	v_fma_f64 v[2:3], v[0:1], v[6:7], -v[2:3]
	v_mul_f64 v[0:1], v[26:27], s[0:1]
	v_mul_f64 v[2:3], v[2:3], s[0:1]
	global_store_dwordx4 v[24:25], v[0:3], off
	global_load_dwordx4 v[0:3], v[22:23], off offset:3584
	s_waitcnt vmcnt(0) lgkmcnt(0)
	v_mul_f64 v[4:5], v[10:11], v[2:3]
	v_mul_f64 v[2:3], v[8:9], v[2:3]
	v_fmac_f64_e32 v[4:5], v[8:9], v[0:1]
	v_fma_f64 v[2:3], v[0:1], v[10:11], -v[2:3]
	v_mul_f64 v[0:1], v[4:5], s[0:1]
	v_mul_f64 v[2:3], v[2:3], s[0:1]
	global_store_dwordx4 v[14:15], v[0:3], off
	global_load_dwordx4 v[0:3], v[16:17], off offset:1024
	ds_read_b128 v[4:7], v252 offset:21504
	ds_read_b128 v[8:11], v252 offset:23040
	v_mad_u64_u32 v[14:15], s[2:3], s4, v28, v[14:15]
	v_add_u32_e32 v15, s6, v15
	s_waitcnt vmcnt(0) lgkmcnt(1)
	v_mul_f64 v[22:23], v[6:7], v[2:3]
	v_mul_f64 v[2:3], v[4:5], v[2:3]
	v_fmac_f64_e32 v[22:23], v[4:5], v[0:1]
	v_fma_f64 v[2:3], v[0:1], v[6:7], -v[2:3]
	v_mul_f64 v[0:1], v[22:23], s[0:1]
	v_mul_f64 v[2:3], v[2:3], s[0:1]
	global_store_dwordx4 v[14:15], v[0:3], off
	global_load_dwordx4 v[0:3], v[16:17], off offset:2560
	v_mad_u64_u32 v[4:5], s[2:3], s4, v28, v[14:15]
	v_or_b32_e32 v16, 0x600, v244
	v_add_u32_e32 v5, s6, v5
	v_lshlrev_b32_e32 v17, 4, v16
	s_waitcnt vmcnt(0) lgkmcnt(0)
	v_mul_f64 v[6:7], v[10:11], v[2:3]
	v_mul_f64 v[2:3], v[8:9], v[2:3]
	v_fmac_f64_e32 v[6:7], v[8:9], v[0:1]
	v_fma_f64 v[2:3], v[0:1], v[10:11], -v[2:3]
	v_mul_f64 v[0:1], v[6:7], s[0:1]
	v_mul_f64 v[2:3], v[2:3], s[0:1]
	global_store_dwordx4 v[4:5], v[0:3], off
	global_load_dwordx4 v[0:3], v17, s[8:9]
	v_mad_u64_u32 v[4:5], s[2:3], s4, v16, 0
	v_mov_b32_e32 v6, v5
	v_mad_u64_u32 v[6:7], s[2:3], s5, v16, v[6:7]
	v_mov_b32_e32 v5, v6
	v_lshl_add_u64 v[4:5], v[4:5], 4, v[12:13]
	s_waitcnt vmcnt(0)
	v_mul_f64 v[6:7], v[20:21], v[2:3]
	v_mul_f64 v[2:3], v[18:19], v[2:3]
	v_fmac_f64_e32 v[6:7], v[18:19], v[0:1]
	v_fma_f64 v[2:3], v[0:1], v[20:21], -v[2:3]
	v_mul_f64 v[0:1], v[6:7], s[0:1]
	v_mul_f64 v[2:3], v[2:3], s[0:1]
	global_store_dwordx4 v[4:5], v[0:3], off
.LBB0_23:
	s_endpgm
	.section	.rodata,"a",@progbits
	.p2align	6, 0x0
	.amdhsa_kernel bluestein_single_back_len1632_dim1_dp_op_CI_CI
		.amdhsa_group_segment_fixed_size 26112
		.amdhsa_private_segment_fixed_size 0
		.amdhsa_kernarg_size 104
		.amdhsa_user_sgpr_count 2
		.amdhsa_user_sgpr_dispatch_ptr 0
		.amdhsa_user_sgpr_queue_ptr 0
		.amdhsa_user_sgpr_kernarg_segment_ptr 1
		.amdhsa_user_sgpr_dispatch_id 0
		.amdhsa_user_sgpr_kernarg_preload_length 0
		.amdhsa_user_sgpr_kernarg_preload_offset 0
		.amdhsa_user_sgpr_private_segment_size 0
		.amdhsa_uses_dynamic_stack 0
		.amdhsa_enable_private_segment 0
		.amdhsa_system_sgpr_workgroup_id_x 1
		.amdhsa_system_sgpr_workgroup_id_y 0
		.amdhsa_system_sgpr_workgroup_id_z 0
		.amdhsa_system_sgpr_workgroup_info 0
		.amdhsa_system_vgpr_workitem_id 0
		.amdhsa_next_free_vgpr 447
		.amdhsa_next_free_sgpr 60
		.amdhsa_accum_offset 256
		.amdhsa_reserve_vcc 1
		.amdhsa_float_round_mode_32 0
		.amdhsa_float_round_mode_16_64 0
		.amdhsa_float_denorm_mode_32 3
		.amdhsa_float_denorm_mode_16_64 3
		.amdhsa_dx10_clamp 1
		.amdhsa_ieee_mode 1
		.amdhsa_fp16_overflow 0
		.amdhsa_tg_split 0
		.amdhsa_exception_fp_ieee_invalid_op 0
		.amdhsa_exception_fp_denorm_src 0
		.amdhsa_exception_fp_ieee_div_zero 0
		.amdhsa_exception_fp_ieee_overflow 0
		.amdhsa_exception_fp_ieee_underflow 0
		.amdhsa_exception_fp_ieee_inexact 0
		.amdhsa_exception_int_div_zero 0
	.end_amdhsa_kernel
	.text
.Lfunc_end0:
	.size	bluestein_single_back_len1632_dim1_dp_op_CI_CI, .Lfunc_end0-bluestein_single_back_len1632_dim1_dp_op_CI_CI
                                        ; -- End function
	.section	.AMDGPU.csdata,"",@progbits
; Kernel info:
; codeLenInByte = 29956
; NumSgprs: 66
; NumVgprs: 256
; NumAgprs: 191
; TotalNumVgprs: 447
; ScratchSize: 0
; MemoryBound: 0
; FloatMode: 240
; IeeeMode: 1
; LDSByteSize: 26112 bytes/workgroup (compile time only)
; SGPRBlocks: 8
; VGPRBlocks: 55
; NumSGPRsForWavesPerEU: 66
; NumVGPRsForWavesPerEU: 447
; AccumOffset: 256
; Occupancy: 1
; WaveLimiterHint : 1
; COMPUTE_PGM_RSRC2:SCRATCH_EN: 0
; COMPUTE_PGM_RSRC2:USER_SGPR: 2
; COMPUTE_PGM_RSRC2:TRAP_HANDLER: 0
; COMPUTE_PGM_RSRC2:TGID_X_EN: 1
; COMPUTE_PGM_RSRC2:TGID_Y_EN: 0
; COMPUTE_PGM_RSRC2:TGID_Z_EN: 0
; COMPUTE_PGM_RSRC2:TIDIG_COMP_CNT: 0
; COMPUTE_PGM_RSRC3_GFX90A:ACCUM_OFFSET: 63
; COMPUTE_PGM_RSRC3_GFX90A:TG_SPLIT: 0
	.text
	.p2alignl 6, 3212836864
	.fill 256, 4, 3212836864
	.type	__hip_cuid_d1060713bdecc4f2,@object ; @__hip_cuid_d1060713bdecc4f2
	.section	.bss,"aw",@nobits
	.globl	__hip_cuid_d1060713bdecc4f2
__hip_cuid_d1060713bdecc4f2:
	.byte	0                               ; 0x0
	.size	__hip_cuid_d1060713bdecc4f2, 1

	.ident	"AMD clang version 19.0.0git (https://github.com/RadeonOpenCompute/llvm-project roc-6.4.0 25133 c7fe45cf4b819c5991fe208aaa96edf142730f1d)"
	.section	".note.GNU-stack","",@progbits
	.addrsig
	.addrsig_sym __hip_cuid_d1060713bdecc4f2
	.amdgpu_metadata
---
amdhsa.kernels:
  - .agpr_count:     191
    .args:
      - .actual_access:  read_only
        .address_space:  global
        .offset:         0
        .size:           8
        .value_kind:     global_buffer
      - .actual_access:  read_only
        .address_space:  global
        .offset:         8
        .size:           8
        .value_kind:     global_buffer
      - .actual_access:  read_only
        .address_space:  global
        .offset:         16
        .size:           8
        .value_kind:     global_buffer
      - .actual_access:  read_only
        .address_space:  global
        .offset:         24
        .size:           8
        .value_kind:     global_buffer
      - .actual_access:  read_only
        .address_space:  global
        .offset:         32
        .size:           8
        .value_kind:     global_buffer
      - .offset:         40
        .size:           8
        .value_kind:     by_value
      - .address_space:  global
        .offset:         48
        .size:           8
        .value_kind:     global_buffer
      - .address_space:  global
        .offset:         56
        .size:           8
        .value_kind:     global_buffer
      - .address_space:  global
        .offset:         64
        .size:           8
        .value_kind:     global_buffer
      - .address_space:  global
        .offset:         72
        .size:           8
        .value_kind:     global_buffer
      - .offset:         80
        .size:           4
        .value_kind:     by_value
      - .address_space:  global
        .offset:         88
        .size:           8
        .value_kind:     global_buffer
      - .address_space:  global
        .offset:         96
        .size:           8
        .value_kind:     global_buffer
    .group_segment_fixed_size: 26112
    .kernarg_segment_align: 8
    .kernarg_segment_size: 104
    .language:       OpenCL C
    .language_version:
      - 2
      - 0
    .max_flat_workgroup_size: 102
    .name:           bluestein_single_back_len1632_dim1_dp_op_CI_CI
    .private_segment_fixed_size: 0
    .sgpr_count:     66
    .sgpr_spill_count: 0
    .symbol:         bluestein_single_back_len1632_dim1_dp_op_CI_CI.kd
    .uniform_work_group_size: 1
    .uses_dynamic_stack: false
    .vgpr_count:     447
    .vgpr_spill_count: 2
    .wavefront_size: 64
amdhsa.target:   amdgcn-amd-amdhsa--gfx950
amdhsa.version:
  - 1
  - 2
...

	.end_amdgpu_metadata
